;; amdgpu-corpus repo=ROCm/rocSPARSE kind=compiled arch=gfx1250 opt=O3
	.amdgcn_target "amdgcn-amd-amdhsa--gfx1250"
	.amdhsa_code_object_version 6
	.section	.text._ZN9rocsparseL23sddmm_ell_sample_kernelILi16ELi32EDF16_iDF16_EEvT2_S1_PKT3_lS1_PS2_PKS1_21rocsparse_index_base_,"axG",@progbits,_ZN9rocsparseL23sddmm_ell_sample_kernelILi16ELi32EDF16_iDF16_EEvT2_S1_PKT3_lS1_PS2_PKS1_21rocsparse_index_base_,comdat
	.globl	_ZN9rocsparseL23sddmm_ell_sample_kernelILi16ELi32EDF16_iDF16_EEvT2_S1_PKT3_lS1_PS2_PKS1_21rocsparse_index_base_ ; -- Begin function _ZN9rocsparseL23sddmm_ell_sample_kernelILi16ELi32EDF16_iDF16_EEvT2_S1_PKT3_lS1_PS2_PKS1_21rocsparse_index_base_
	.p2align	8
	.type	_ZN9rocsparseL23sddmm_ell_sample_kernelILi16ELi32EDF16_iDF16_EEvT2_S1_PKT3_lS1_PS2_PKS1_21rocsparse_index_base_,@function
_ZN9rocsparseL23sddmm_ell_sample_kernelILi16ELi32EDF16_iDF16_EEvT2_S1_PKT3_lS1_PS2_PKS1_21rocsparse_index_base_: ; @_ZN9rocsparseL23sddmm_ell_sample_kernelILi16ELi32EDF16_iDF16_EEvT2_S1_PKT3_lS1_PS2_PKS1_21rocsparse_index_base_
; %bb.0:
	s_load_b32 s2, s[0:1], 0x18
	s_bfe_u32 s3, ttmp6, 0x4000c
	s_and_b32 s4, ttmp6, 15
	s_add_co_i32 s3, s3, 1
	s_getreg_b32 s5, hwreg(HW_REG_IB_STS2, 6, 4)
	s_mul_i32 s3, ttmp9, s3
	v_lshrrev_b32_e32 v1, 5, v0
	s_add_co_i32 s4, s4, s3
	s_cmp_eq_u32 s5, 0
	s_cselect_b32 s3, ttmp9, s4
	s_delay_alu instid0(VALU_DEP_1) | instid1(SALU_CYCLE_1)
	v_lshl_or_b32 v2, s3, 4, v1
	s_wait_kmcnt 0x0
	s_delay_alu instid0(VALU_DEP_1)
	v_cmp_gt_u32_e32 vcc_lo, s2, v2
	s_and_saveexec_b32 s2, vcc_lo
	s_cbranch_execz .LBB0_6
; %bb.1:
	s_load_b64 s[2:3], s[0:1], 0x0
	v_and_b32_e32 v4, 31, v0
	s_wait_kmcnt 0x0
	s_delay_alu instid0(VALU_DEP_1)
	v_cmp_gt_i32_e32 vcc_lo, s2, v4
	s_and_b32 exec_lo, exec_lo, vcc_lo
	s_cbranch_execz .LBB0_6
; %bb.2:
	s_clause 0x2
	s_load_b128 s[12:15], s[0:1], 0x8
	s_load_b128 s[4:7], s[0:1], 0x20
	s_load_b32 s10, s[0:1], 0x30
	v_dual_mov_b32 v1, 0 :: v_dual_bitop2_b32 v0, 31, v0 bitop3:0x40
	v_mul_lo_u32 v5, v2, s2
	s_wait_xcnt 0x0
	s_mov_b32 s1, 0
	s_delay_alu instid0(VALU_DEP_2) | instskip(SKIP_1) | instid1(VALU_DEP_1)
	v_lshlrev_b32_e32 v0, 1, v0
	s_wait_kmcnt 0x0
	v_add_nc_u64_e32 v[2:3], s[12:13], v[0:1]
	s_lshl_b64 s[8:9], s[14:15], 1
	s_branch .LBB0_4
.LBB0_3:                                ;   in Loop: Header=BB0_4 Depth=1
	s_wait_xcnt 0x0
	s_or_b32 exec_lo, exec_lo, s0
	v_add_nc_u32_e32 v4, 32, v4
	v_add_nc_u64_e32 v[2:3], 64, v[2:3]
	s_delay_alu instid0(VALU_DEP_2) | instskip(SKIP_1) | instid1(SALU_CYCLE_1)
	v_cmp_le_i32_e32 vcc_lo, s2, v4
	s_or_b32 s1, vcc_lo, s1
	s_and_not1_b32 exec_lo, exec_lo, s1
	s_cbranch_execz .LBB0_6
.LBB0_4:                                ; =>This Inner Loop Header: Depth=1
	s_delay_alu instid0(VALU_DEP_3) | instskip(SKIP_3) | instid1(VALU_DEP_1)
	v_add_nc_u32_e32 v0, v5, v4
	global_load_b32 v6, v0, s[6:7] scale_offset
	s_wait_loadcnt 0x0
	v_subrev_nc_u32_e32 v6, s10, v6
	v_cmp_lt_i32_e32 vcc_lo, -1, v6
	v_cmp_gt_i32_e64 s0, s3, v6
	s_and_b32 s11, vcc_lo, s0
	s_wait_xcnt 0x0
	s_and_saveexec_b32 s0, s11
	s_cbranch_execz .LBB0_3
; %bb.5:                                ;   in Loop: Header=BB0_4 Depth=1
	v_mad_nc_u64_u32 v[8:9], s8, v6, v[2:3]
	s_delay_alu instid0(VALU_DEP_1)
	v_mad_u32 v9, s9, v6, v9
	v_lshl_add_u64 v[6:7], v[0:1], 1, s[4:5]
	global_load_u16 v8, v[8:9], off
	s_wait_loadcnt 0x0
	global_store_b16 v[6:7], v8, off
	s_branch .LBB0_3
.LBB0_6:
	s_endpgm
	.section	.rodata,"a",@progbits
	.p2align	6, 0x0
	.amdhsa_kernel _ZN9rocsparseL23sddmm_ell_sample_kernelILi16ELi32EDF16_iDF16_EEvT2_S1_PKT3_lS1_PS2_PKS1_21rocsparse_index_base_
		.amdhsa_group_segment_fixed_size 0
		.amdhsa_private_segment_fixed_size 0
		.amdhsa_kernarg_size 52
		.amdhsa_user_sgpr_count 2
		.amdhsa_user_sgpr_dispatch_ptr 0
		.amdhsa_user_sgpr_queue_ptr 0
		.amdhsa_user_sgpr_kernarg_segment_ptr 1
		.amdhsa_user_sgpr_dispatch_id 0
		.amdhsa_user_sgpr_kernarg_preload_length 0
		.amdhsa_user_sgpr_kernarg_preload_offset 0
		.amdhsa_user_sgpr_private_segment_size 0
		.amdhsa_wavefront_size32 1
		.amdhsa_uses_dynamic_stack 0
		.amdhsa_enable_private_segment 0
		.amdhsa_system_sgpr_workgroup_id_x 1
		.amdhsa_system_sgpr_workgroup_id_y 0
		.amdhsa_system_sgpr_workgroup_id_z 0
		.amdhsa_system_sgpr_workgroup_info 0
		.amdhsa_system_vgpr_workitem_id 0
		.amdhsa_next_free_vgpr 10
		.amdhsa_next_free_sgpr 16
		.amdhsa_named_barrier_count 0
		.amdhsa_reserve_vcc 1
		.amdhsa_float_round_mode_32 0
		.amdhsa_float_round_mode_16_64 0
		.amdhsa_float_denorm_mode_32 3
		.amdhsa_float_denorm_mode_16_64 3
		.amdhsa_fp16_overflow 0
		.amdhsa_memory_ordered 1
		.amdhsa_forward_progress 1
		.amdhsa_inst_pref_size 3
		.amdhsa_round_robin_scheduling 0
		.amdhsa_exception_fp_ieee_invalid_op 0
		.amdhsa_exception_fp_denorm_src 0
		.amdhsa_exception_fp_ieee_div_zero 0
		.amdhsa_exception_fp_ieee_overflow 0
		.amdhsa_exception_fp_ieee_underflow 0
		.amdhsa_exception_fp_ieee_inexact 0
		.amdhsa_exception_int_div_zero 0
	.end_amdhsa_kernel
	.section	.text._ZN9rocsparseL23sddmm_ell_sample_kernelILi16ELi32EDF16_iDF16_EEvT2_S1_PKT3_lS1_PS2_PKS1_21rocsparse_index_base_,"axG",@progbits,_ZN9rocsparseL23sddmm_ell_sample_kernelILi16ELi32EDF16_iDF16_EEvT2_S1_PKT3_lS1_PS2_PKS1_21rocsparse_index_base_,comdat
.Lfunc_end0:
	.size	_ZN9rocsparseL23sddmm_ell_sample_kernelILi16ELi32EDF16_iDF16_EEvT2_S1_PKT3_lS1_PS2_PKS1_21rocsparse_index_base_, .Lfunc_end0-_ZN9rocsparseL23sddmm_ell_sample_kernelILi16ELi32EDF16_iDF16_EEvT2_S1_PKT3_lS1_PS2_PKS1_21rocsparse_index_base_
                                        ; -- End function
	.set _ZN9rocsparseL23sddmm_ell_sample_kernelILi16ELi32EDF16_iDF16_EEvT2_S1_PKT3_lS1_PS2_PKS1_21rocsparse_index_base_.num_vgpr, 10
	.set _ZN9rocsparseL23sddmm_ell_sample_kernelILi16ELi32EDF16_iDF16_EEvT2_S1_PKT3_lS1_PS2_PKS1_21rocsparse_index_base_.num_agpr, 0
	.set _ZN9rocsparseL23sddmm_ell_sample_kernelILi16ELi32EDF16_iDF16_EEvT2_S1_PKT3_lS1_PS2_PKS1_21rocsparse_index_base_.numbered_sgpr, 16
	.set _ZN9rocsparseL23sddmm_ell_sample_kernelILi16ELi32EDF16_iDF16_EEvT2_S1_PKT3_lS1_PS2_PKS1_21rocsparse_index_base_.num_named_barrier, 0
	.set _ZN9rocsparseL23sddmm_ell_sample_kernelILi16ELi32EDF16_iDF16_EEvT2_S1_PKT3_lS1_PS2_PKS1_21rocsparse_index_base_.private_seg_size, 0
	.set _ZN9rocsparseL23sddmm_ell_sample_kernelILi16ELi32EDF16_iDF16_EEvT2_S1_PKT3_lS1_PS2_PKS1_21rocsparse_index_base_.uses_vcc, 1
	.set _ZN9rocsparseL23sddmm_ell_sample_kernelILi16ELi32EDF16_iDF16_EEvT2_S1_PKT3_lS1_PS2_PKS1_21rocsparse_index_base_.uses_flat_scratch, 0
	.set _ZN9rocsparseL23sddmm_ell_sample_kernelILi16ELi32EDF16_iDF16_EEvT2_S1_PKT3_lS1_PS2_PKS1_21rocsparse_index_base_.has_dyn_sized_stack, 0
	.set _ZN9rocsparseL23sddmm_ell_sample_kernelILi16ELi32EDF16_iDF16_EEvT2_S1_PKT3_lS1_PS2_PKS1_21rocsparse_index_base_.has_recursion, 0
	.set _ZN9rocsparseL23sddmm_ell_sample_kernelILi16ELi32EDF16_iDF16_EEvT2_S1_PKT3_lS1_PS2_PKS1_21rocsparse_index_base_.has_indirect_call, 0
	.section	.AMDGPU.csdata,"",@progbits
; Kernel info:
; codeLenInByte = 348
; TotalNumSgprs: 18
; NumVgprs: 10
; ScratchSize: 0
; MemoryBound: 0
; FloatMode: 240
; IeeeMode: 1
; LDSByteSize: 0 bytes/workgroup (compile time only)
; SGPRBlocks: 0
; VGPRBlocks: 0
; NumSGPRsForWavesPerEU: 18
; NumVGPRsForWavesPerEU: 10
; NamedBarCnt: 0
; Occupancy: 16
; WaveLimiterHint : 1
; COMPUTE_PGM_RSRC2:SCRATCH_EN: 0
; COMPUTE_PGM_RSRC2:USER_SGPR: 2
; COMPUTE_PGM_RSRC2:TRAP_HANDLER: 0
; COMPUTE_PGM_RSRC2:TGID_X_EN: 1
; COMPUTE_PGM_RSRC2:TGID_Y_EN: 0
; COMPUTE_PGM_RSRC2:TGID_Z_EN: 0
; COMPUTE_PGM_RSRC2:TIDIG_COMP_CNT: 0
	.section	.text._ZN9rocsparseL23sddmm_ell_sample_kernelILi16ELi64EDF16_iDF16_EEvT2_S1_PKT3_lS1_PS2_PKS1_21rocsparse_index_base_,"axG",@progbits,_ZN9rocsparseL23sddmm_ell_sample_kernelILi16ELi64EDF16_iDF16_EEvT2_S1_PKT3_lS1_PS2_PKS1_21rocsparse_index_base_,comdat
	.globl	_ZN9rocsparseL23sddmm_ell_sample_kernelILi16ELi64EDF16_iDF16_EEvT2_S1_PKT3_lS1_PS2_PKS1_21rocsparse_index_base_ ; -- Begin function _ZN9rocsparseL23sddmm_ell_sample_kernelILi16ELi64EDF16_iDF16_EEvT2_S1_PKT3_lS1_PS2_PKS1_21rocsparse_index_base_
	.p2align	8
	.type	_ZN9rocsparseL23sddmm_ell_sample_kernelILi16ELi64EDF16_iDF16_EEvT2_S1_PKT3_lS1_PS2_PKS1_21rocsparse_index_base_,@function
_ZN9rocsparseL23sddmm_ell_sample_kernelILi16ELi64EDF16_iDF16_EEvT2_S1_PKT3_lS1_PS2_PKS1_21rocsparse_index_base_: ; @_ZN9rocsparseL23sddmm_ell_sample_kernelILi16ELi64EDF16_iDF16_EEvT2_S1_PKT3_lS1_PS2_PKS1_21rocsparse_index_base_
; %bb.0:
	s_load_b32 s2, s[0:1], 0x18
	s_bfe_u32 s3, ttmp6, 0x4000c
	s_and_b32 s4, ttmp6, 15
	s_add_co_i32 s3, s3, 1
	s_getreg_b32 s5, hwreg(HW_REG_IB_STS2, 6, 4)
	s_mul_i32 s3, ttmp9, s3
	v_lshrrev_b32_e32 v1, 6, v0
	s_add_co_i32 s4, s4, s3
	s_cmp_eq_u32 s5, 0
	s_cselect_b32 s3, ttmp9, s4
	s_delay_alu instid0(VALU_DEP_1) | instid1(SALU_CYCLE_1)
	v_lshl_or_b32 v2, s3, 4, v1
	s_wait_kmcnt 0x0
	s_delay_alu instid0(VALU_DEP_1)
	v_cmp_gt_u32_e32 vcc_lo, s2, v2
	s_and_saveexec_b32 s2, vcc_lo
	s_cbranch_execz .LBB1_6
; %bb.1:
	s_load_b64 s[2:3], s[0:1], 0x0
	v_and_b32_e32 v4, 63, v0
	s_wait_kmcnt 0x0
	s_delay_alu instid0(VALU_DEP_1)
	v_cmp_gt_i32_e32 vcc_lo, s2, v4
	s_and_b32 exec_lo, exec_lo, vcc_lo
	s_cbranch_execz .LBB1_6
; %bb.2:
	s_clause 0x2
	s_load_b128 s[12:15], s[0:1], 0x8
	s_load_b128 s[4:7], s[0:1], 0x20
	s_load_b32 s10, s[0:1], 0x30
	v_dual_mov_b32 v1, 0 :: v_dual_bitop2_b32 v0, 63, v0 bitop3:0x40
	v_mul_lo_u32 v5, v2, s2
	s_wait_xcnt 0x0
	s_mov_b32 s1, 0
	s_delay_alu instid0(VALU_DEP_2) | instskip(SKIP_1) | instid1(VALU_DEP_1)
	v_lshlrev_b32_e32 v0, 1, v0
	s_wait_kmcnt 0x0
	v_add_nc_u64_e32 v[2:3], s[12:13], v[0:1]
	s_lshl_b64 s[8:9], s[14:15], 1
	s_branch .LBB1_4
.LBB1_3:                                ;   in Loop: Header=BB1_4 Depth=1
	s_wait_xcnt 0x0
	s_or_b32 exec_lo, exec_lo, s0
	v_add_nc_u32_e32 v4, 64, v4
	v_add_nc_u64_e32 v[2:3], 0x80, v[2:3]
	s_delay_alu instid0(VALU_DEP_2) | instskip(SKIP_1) | instid1(SALU_CYCLE_1)
	v_cmp_le_i32_e32 vcc_lo, s2, v4
	s_or_b32 s1, vcc_lo, s1
	s_and_not1_b32 exec_lo, exec_lo, s1
	s_cbranch_execz .LBB1_6
.LBB1_4:                                ; =>This Inner Loop Header: Depth=1
	s_delay_alu instid0(VALU_DEP_3) | instskip(SKIP_3) | instid1(VALU_DEP_1)
	v_add_nc_u32_e32 v0, v5, v4
	global_load_b32 v6, v0, s[6:7] scale_offset
	s_wait_loadcnt 0x0
	v_subrev_nc_u32_e32 v6, s10, v6
	v_cmp_lt_i32_e32 vcc_lo, -1, v6
	v_cmp_gt_i32_e64 s0, s3, v6
	s_and_b32 s11, vcc_lo, s0
	s_wait_xcnt 0x0
	s_and_saveexec_b32 s0, s11
	s_cbranch_execz .LBB1_3
; %bb.5:                                ;   in Loop: Header=BB1_4 Depth=1
	v_mad_nc_u64_u32 v[8:9], s8, v6, v[2:3]
	s_delay_alu instid0(VALU_DEP_1)
	v_mad_u32 v9, s9, v6, v9
	v_lshl_add_u64 v[6:7], v[0:1], 1, s[4:5]
	global_load_u16 v8, v[8:9], off
	s_wait_loadcnt 0x0
	global_store_b16 v[6:7], v8, off
	s_branch .LBB1_3
.LBB1_6:
	s_endpgm
	.section	.rodata,"a",@progbits
	.p2align	6, 0x0
	.amdhsa_kernel _ZN9rocsparseL23sddmm_ell_sample_kernelILi16ELi64EDF16_iDF16_EEvT2_S1_PKT3_lS1_PS2_PKS1_21rocsparse_index_base_
		.amdhsa_group_segment_fixed_size 0
		.amdhsa_private_segment_fixed_size 0
		.amdhsa_kernarg_size 52
		.amdhsa_user_sgpr_count 2
		.amdhsa_user_sgpr_dispatch_ptr 0
		.amdhsa_user_sgpr_queue_ptr 0
		.amdhsa_user_sgpr_kernarg_segment_ptr 1
		.amdhsa_user_sgpr_dispatch_id 0
		.amdhsa_user_sgpr_kernarg_preload_length 0
		.amdhsa_user_sgpr_kernarg_preload_offset 0
		.amdhsa_user_sgpr_private_segment_size 0
		.amdhsa_wavefront_size32 1
		.amdhsa_uses_dynamic_stack 0
		.amdhsa_enable_private_segment 0
		.amdhsa_system_sgpr_workgroup_id_x 1
		.amdhsa_system_sgpr_workgroup_id_y 0
		.amdhsa_system_sgpr_workgroup_id_z 0
		.amdhsa_system_sgpr_workgroup_info 0
		.amdhsa_system_vgpr_workitem_id 0
		.amdhsa_next_free_vgpr 10
		.amdhsa_next_free_sgpr 16
		.amdhsa_named_barrier_count 0
		.amdhsa_reserve_vcc 1
		.amdhsa_float_round_mode_32 0
		.amdhsa_float_round_mode_16_64 0
		.amdhsa_float_denorm_mode_32 3
		.amdhsa_float_denorm_mode_16_64 3
		.amdhsa_fp16_overflow 0
		.amdhsa_memory_ordered 1
		.amdhsa_forward_progress 1
		.amdhsa_inst_pref_size 3
		.amdhsa_round_robin_scheduling 0
		.amdhsa_exception_fp_ieee_invalid_op 0
		.amdhsa_exception_fp_denorm_src 0
		.amdhsa_exception_fp_ieee_div_zero 0
		.amdhsa_exception_fp_ieee_overflow 0
		.amdhsa_exception_fp_ieee_underflow 0
		.amdhsa_exception_fp_ieee_inexact 0
		.amdhsa_exception_int_div_zero 0
	.end_amdhsa_kernel
	.section	.text._ZN9rocsparseL23sddmm_ell_sample_kernelILi16ELi64EDF16_iDF16_EEvT2_S1_PKT3_lS1_PS2_PKS1_21rocsparse_index_base_,"axG",@progbits,_ZN9rocsparseL23sddmm_ell_sample_kernelILi16ELi64EDF16_iDF16_EEvT2_S1_PKT3_lS1_PS2_PKS1_21rocsparse_index_base_,comdat
.Lfunc_end1:
	.size	_ZN9rocsparseL23sddmm_ell_sample_kernelILi16ELi64EDF16_iDF16_EEvT2_S1_PKT3_lS1_PS2_PKS1_21rocsparse_index_base_, .Lfunc_end1-_ZN9rocsparseL23sddmm_ell_sample_kernelILi16ELi64EDF16_iDF16_EEvT2_S1_PKT3_lS1_PS2_PKS1_21rocsparse_index_base_
                                        ; -- End function
	.set _ZN9rocsparseL23sddmm_ell_sample_kernelILi16ELi64EDF16_iDF16_EEvT2_S1_PKT3_lS1_PS2_PKS1_21rocsparse_index_base_.num_vgpr, 10
	.set _ZN9rocsparseL23sddmm_ell_sample_kernelILi16ELi64EDF16_iDF16_EEvT2_S1_PKT3_lS1_PS2_PKS1_21rocsparse_index_base_.num_agpr, 0
	.set _ZN9rocsparseL23sddmm_ell_sample_kernelILi16ELi64EDF16_iDF16_EEvT2_S1_PKT3_lS1_PS2_PKS1_21rocsparse_index_base_.numbered_sgpr, 16
	.set _ZN9rocsparseL23sddmm_ell_sample_kernelILi16ELi64EDF16_iDF16_EEvT2_S1_PKT3_lS1_PS2_PKS1_21rocsparse_index_base_.num_named_barrier, 0
	.set _ZN9rocsparseL23sddmm_ell_sample_kernelILi16ELi64EDF16_iDF16_EEvT2_S1_PKT3_lS1_PS2_PKS1_21rocsparse_index_base_.private_seg_size, 0
	.set _ZN9rocsparseL23sddmm_ell_sample_kernelILi16ELi64EDF16_iDF16_EEvT2_S1_PKT3_lS1_PS2_PKS1_21rocsparse_index_base_.uses_vcc, 1
	.set _ZN9rocsparseL23sddmm_ell_sample_kernelILi16ELi64EDF16_iDF16_EEvT2_S1_PKT3_lS1_PS2_PKS1_21rocsparse_index_base_.uses_flat_scratch, 0
	.set _ZN9rocsparseL23sddmm_ell_sample_kernelILi16ELi64EDF16_iDF16_EEvT2_S1_PKT3_lS1_PS2_PKS1_21rocsparse_index_base_.has_dyn_sized_stack, 0
	.set _ZN9rocsparseL23sddmm_ell_sample_kernelILi16ELi64EDF16_iDF16_EEvT2_S1_PKT3_lS1_PS2_PKS1_21rocsparse_index_base_.has_recursion, 0
	.set _ZN9rocsparseL23sddmm_ell_sample_kernelILi16ELi64EDF16_iDF16_EEvT2_S1_PKT3_lS1_PS2_PKS1_21rocsparse_index_base_.has_indirect_call, 0
	.section	.AMDGPU.csdata,"",@progbits
; Kernel info:
; codeLenInByte = 352
; TotalNumSgprs: 18
; NumVgprs: 10
; ScratchSize: 0
; MemoryBound: 0
; FloatMode: 240
; IeeeMode: 1
; LDSByteSize: 0 bytes/workgroup (compile time only)
; SGPRBlocks: 0
; VGPRBlocks: 0
; NumSGPRsForWavesPerEU: 18
; NumVGPRsForWavesPerEU: 10
; NamedBarCnt: 0
; Occupancy: 16
; WaveLimiterHint : 1
; COMPUTE_PGM_RSRC2:SCRATCH_EN: 0
; COMPUTE_PGM_RSRC2:USER_SGPR: 2
; COMPUTE_PGM_RSRC2:TRAP_HANDLER: 0
; COMPUTE_PGM_RSRC2:TGID_X_EN: 1
; COMPUTE_PGM_RSRC2:TGID_Y_EN: 0
; COMPUTE_PGM_RSRC2:TGID_Z_EN: 0
; COMPUTE_PGM_RSRC2:TIDIG_COMP_CNT: 0
	.section	.text._ZN9rocsparseL16sddmm_ell_kernelILi512ELi8EDF16_iiDF16_DF16_DF16_EEv20rocsparse_operation_S1_16rocsparse_order_S2_T3_S3_S3_T2_NS_24const_host_device_scalarIT1_EEPKT4_lPKT5_lS7_PT6_PKS3_21rocsparse_index_base_b,"axG",@progbits,_ZN9rocsparseL16sddmm_ell_kernelILi512ELi8EDF16_iiDF16_DF16_DF16_EEv20rocsparse_operation_S1_16rocsparse_order_S2_T3_S3_S3_T2_NS_24const_host_device_scalarIT1_EEPKT4_lPKT5_lS7_PT6_PKS3_21rocsparse_index_base_b,comdat
	.globl	_ZN9rocsparseL16sddmm_ell_kernelILi512ELi8EDF16_iiDF16_DF16_DF16_EEv20rocsparse_operation_S1_16rocsparse_order_S2_T3_S3_S3_T2_NS_24const_host_device_scalarIT1_EEPKT4_lPKT5_lS7_PT6_PKS3_21rocsparse_index_base_b ; -- Begin function _ZN9rocsparseL16sddmm_ell_kernelILi512ELi8EDF16_iiDF16_DF16_DF16_EEv20rocsparse_operation_S1_16rocsparse_order_S2_T3_S3_S3_T2_NS_24const_host_device_scalarIT1_EEPKT4_lPKT5_lS7_PT6_PKS3_21rocsparse_index_base_b
	.p2align	8
	.type	_ZN9rocsparseL16sddmm_ell_kernelILi512ELi8EDF16_iiDF16_DF16_DF16_EEv20rocsparse_operation_S1_16rocsparse_order_S2_T3_S3_S3_T2_NS_24const_host_device_scalarIT1_EEPKT4_lPKT5_lS7_PT6_PKS3_21rocsparse_index_base_b,@function
_ZN9rocsparseL16sddmm_ell_kernelILi512ELi8EDF16_iiDF16_DF16_DF16_EEv20rocsparse_operation_S1_16rocsparse_order_S2_T3_S3_S3_T2_NS_24const_host_device_scalarIT1_EEPKT4_lPKT5_lS7_PT6_PKS3_21rocsparse_index_base_b: ; @_ZN9rocsparseL16sddmm_ell_kernelILi512ELi8EDF16_iiDF16_DF16_DF16_EEv20rocsparse_operation_S1_16rocsparse_order_S2_T3_S3_S3_T2_NS_24const_host_device_scalarIT1_EEPKT4_lPKT5_lS7_PT6_PKS3_21rocsparse_index_base_b
; %bb.0:
	s_clause 0x2
	s_load_b64 s[8:9], s[0:1], 0x60
	s_load_b64 s[2:3], s[0:1], 0x20
	s_load_b128 s[4:7], s[0:1], 0x40
	s_wait_kmcnt 0x0
	s_bitcmp1_b32 s9, 0
	v_mov_b32_e32 v10, s2
	s_cselect_b32 s9, -1, 0
	s_delay_alu instid0(SALU_CYCLE_1)
	s_and_b32 vcc_lo, exec_lo, s9
	s_xor_b32 s9, s9, -1
	s_cbranch_vccnz .LBB2_2
; %bb.1:
	v_mov_b32_e32 v1, 0
	global_load_u16 v10, v1, s[2:3]
.LBB2_2:
	v_mov_b32_e32 v11, s6
	s_and_not1_b32 vcc_lo, exec_lo, s9
	s_cbranch_vccnz .LBB2_4
; %bb.3:
	s_wait_xcnt 0x0
	v_mov_b32_e32 v1, 0
	global_load_u16 v11, v1, s[6:7]
.LBB2_4:
	s_wait_loadcnt 0x0
	v_cmp_eq_f16_e32 vcc_lo, 0, v10
	v_cmp_eq_f16_e64 s2, 1.0, v11
	s_and_b32 s2, vcc_lo, s2
	s_delay_alu instid0(SALU_CYCLE_1)
	s_and_b32 vcc_lo, exec_lo, s2
	s_cbranch_vccnz .LBB2_35
; %bb.5:
	s_load_b64 s[2:3], s[0:1], 0x18
	s_bfe_u32 s6, ttmp6, 0x4000c
	s_and_b32 s7, ttmp6, 15
	s_add_co_i32 s6, s6, 1
	s_getreg_b32 s9, hwreg(HW_REG_IB_STS2, 6, 4)
	s_mul_i32 s6, ttmp9, s6
	v_lshrrev_b32_e32 v12, 3, v0
	s_add_co_i32 s7, s7, s6
	s_cmp_eq_u32 s9, 0
	s_cselect_b32 s6, ttmp9, s7
	s_delay_alu instid0(VALU_DEP_1) | instid1(SALU_CYCLE_1)
	v_lshl_or_b32 v2, s6, 6, v12
	s_wait_kmcnt 0x0
	s_delay_alu instid0(VALU_DEP_1)
	v_cmp_gt_i32_e32 vcc_lo, s3, v2
	s_and_saveexec_b32 s3, vcc_lo
	s_cbranch_execz .LBB2_35
; %bb.6:
	s_load_b64 s[6:7], s[0:1], 0x58
	s_mov_b32 s13, -1
	s_wait_kmcnt 0x0
	global_load_b32 v1, v2, s[6:7] scale_offset
	s_wait_loadcnt 0x0
	v_subrev_nc_u32_e32 v4, s8, v1
	s_delay_alu instid0(VALU_DEP_1)
	v_cmp_lt_i32_e32 vcc_lo, -1, v4
	s_and_b32 exec_lo, exec_lo, vcc_lo
	s_cbranch_execz .LBB2_35
; %bb.7:
	s_clause 0x1
	s_load_b128 s[8:11], s[0:1], 0x0
	s_load_b32 s6, s[0:1], 0x10
                                        ; implicit-def: $vgpr6_vgpr7
	s_wait_kmcnt 0x0
	s_cmp_eq_u32 s10, 1
	s_cselect_b32 s3, -1, 0
	s_cmp_eq_u32 s8, 0x6f
	s_cselect_b32 s12, -1, 0
	s_cmp_lg_u32 s8, 0x6f
	s_cselect_b32 s8, -1, 0
	s_abs_i32 s14, s6
	s_delay_alu instid0(SALU_CYCLE_1) | instskip(SKIP_1) | instid1(SALU_CYCLE_2)
	s_cvt_f32_u32 s6, s14
	s_sub_co_i32 s7, 0, s14
	v_rcp_iflag_f32_e32 v1, s6
	v_nop
	s_delay_alu instid0(TRANS32_DEP_1) | instskip(SKIP_2) | instid1(VALU_DEP_1)
	v_readfirstlane_b32 s6, v1
	v_sub_nc_u32_e32 v1, 0, v2
	s_mul_f32 s6, s6, 0x4f7ffffe
	v_max_i32_e32 v1, v2, v1
	s_delay_alu instid0(SALU_CYCLE_2) | instskip(NEXT) | instid1(SALU_CYCLE_3)
	s_cvt_u32_f32 s6, s6
	s_mul_i32 s7, s7, s6
	s_delay_alu instid0(SALU_CYCLE_1) | instskip(NEXT) | instid1(SALU_CYCLE_1)
	s_mul_hi_u32 s7, s6, s7
	s_add_co_i32 s6, s6, s7
	s_cmp_lg_u32 s10, 1
	v_mul_hi_u32 v3, v1, s6
	s_load_b64 s[6:7], s[0:1], 0x30
	s_delay_alu instid0(VALU_DEP_1) | instskip(NEXT) | instid1(VALU_DEP_1)
	v_mul_lo_u32 v3, v3, s14
	v_sub_nc_u32_e32 v1, v1, v3
	s_delay_alu instid0(VALU_DEP_1) | instskip(SKIP_1) | instid1(VALU_DEP_2)
	v_subrev_nc_u32_e32 v3, s14, v1
	v_cmp_le_u32_e32 vcc_lo, s14, v1
	v_dual_cndmask_b32 v1, v1, v3, vcc_lo :: v_dual_ashrrev_i32 v3, 31, v2
	s_delay_alu instid0(VALU_DEP_1) | instskip(SKIP_1) | instid1(VALU_DEP_2)
	v_subrev_nc_u32_e32 v5, s14, v1
	v_cmp_le_u32_e32 vcc_lo, s14, v1
	v_cndmask_b32_e32 v1, v1, v5, vcc_lo
	s_delay_alu instid0(VALU_DEP_1) | instskip(NEXT) | instid1(VALU_DEP_1)
	v_xor_b32_e32 v1, v1, v3
	v_sub_nc_u32_e32 v8, v1, v3
	s_delay_alu instid0(VALU_DEP_1)
	v_ashrrev_i32_e32 v9, 31, v8
	s_cbranch_scc0 .LBB2_11
; %bb.8:
	s_delay_alu instid0(VALU_DEP_1)
	v_mov_b64_e32 v[6:7], v[8:9]
	s_and_not1_b32 vcc_lo, exec_lo, s12
	s_cbranch_vccnz .LBB2_10
; %bb.9:
	s_wait_kmcnt 0x0
	v_mul_u64_e32 v[6:7], s[6:7], v[8:9]
.LBB2_10:
	s_mov_b32 s13, 0
.LBB2_11:
	s_delay_alu instid0(SALU_CYCLE_1)
	s_and_not1_b32 vcc_lo, exec_lo, s13
	s_cbranch_vccnz .LBB2_15
; %bb.12:
	s_and_not1_b32 vcc_lo, exec_lo, s8
	s_cbranch_vccnz .LBB2_14
; %bb.13:
	s_wait_kmcnt 0x0
	v_mul_u64_e32 v[8:9], s[6:7], v[8:9]
.LBB2_14:
	s_delay_alu instid0(VALU_DEP_1)
	v_mov_b64_e32 v[6:7], v[8:9]
.LBB2_15:
	s_cmp_eq_u32 s11, 1
	v_mov_b32_e32 v5, 0
	s_cselect_b32 s10, -1, 0
	s_cmp_eq_u32 s9, 0x6f
	s_cselect_b32 s13, -1, 0
	s_cmp_lg_u32 s9, 0x6f
	s_cselect_b32 s8, -1, 0
	s_cmp_lg_u32 s11, 1
	s_cbranch_scc0 .LBB2_19
; %bb.16:
	v_mov_b64_e32 v[8:9], v[4:5]
	s_and_not1_b32 vcc_lo, exec_lo, s8
	s_cbranch_vccnz .LBB2_18
; %bb.17:
	v_mul_u64_e32 v[8:9], s[4:5], v[4:5]
.LBB2_18:
	s_cbranch_execz .LBB2_20
	s_branch .LBB2_23
.LBB2_19:
                                        ; implicit-def: $vgpr8_vgpr9
.LBB2_20:
	s_and_not1_b32 vcc_lo, exec_lo, s13
	s_cbranch_vccnz .LBB2_22
; %bb.21:
	v_mul_u64_e32 v[4:5], s[4:5], v[4:5]
.LBB2_22:
	s_delay_alu instid0(VALU_DEP_1)
	v_mov_b64_e32 v[8:9], v[4:5]
.LBB2_23:
	v_dual_mov_b32 v1, 0 :: v_dual_bitop2_b32 v13, 7, v0 bitop3:0x40
	s_mov_b32 s8, exec_lo
	s_delay_alu instid0(VALU_DEP_1)
	v_cmpx_gt_i32_e64 s2, v13
	s_cbranch_execz .LBB2_27
; %bb.24:
	s_xor_b32 s3, s12, s3
	v_dual_mov_b32 v1, 0 :: v_dual_bitop2_b32 v0, 7, v0 bitop3:0x40
	s_and_b32 s3, s3, exec_lo
	s_wait_kmcnt 0x0
	s_cselect_b32 s7, 0, s7
	s_cselect_b32 s6, 1, s6
	s_xor_b32 s3, s13, s10
	v_mul_u64_e32 v[4:5], s[6:7], v[0:1]
	s_and_b32 s3, s3, exec_lo
	s_cselect_b32 s11, s5, 0
	s_cselect_b32 s10, s4, 1
	s_clause 0x1
	s_load_b64 s[4:5], s[0:1], 0x28
	s_load_b64 s[12:13], s[0:1], 0x38
	v_mul_u64_e32 v[14:15], s[10:11], v[0:1]
	v_lshlrev_b64_e32 v[6:7], 1, v[6:7]
	v_lshlrev_b64_e32 v[8:9], 1, v[8:9]
	v_mov_b32_e32 v0, v13
	s_mov_b32 s3, 0
	s_delay_alu instid0(VALU_DEP_3) | instskip(NEXT) | instid1(VALU_DEP_3)
	v_lshl_add_u64 v[4:5], v[4:5], 1, v[6:7]
	v_lshl_add_u64 v[6:7], v[14:15], 1, v[8:9]
	s_wait_kmcnt 0x0
	s_delay_alu instid0(VALU_DEP_2)
	v_add_nc_u64_e32 v[4:5], s[4:5], v[4:5]
	s_lshl_b64 s[4:5], s[6:7], 4
	s_lshl_b64 s[6:7], s[10:11], 4
	v_add_nc_u64_e32 v[6:7], s[12:13], v[6:7]
.LBB2_25:                               ; =>This Inner Loop Header: Depth=1
	global_load_u16 v8, v[4:5], off
	global_load_u16 v9, v[6:7], off
	v_add_nc_u32_e32 v0, 8, v0
	s_wait_xcnt 0x1
	v_add_nc_u64_e32 v[4:5], s[4:5], v[4:5]
	s_wait_xcnt 0x0
	v_add_nc_u64_e32 v[6:7], s[6:7], v[6:7]
	v_cmp_le_i32_e32 vcc_lo, s2, v0
	s_or_b32 s3, vcc_lo, s3
	s_wait_loadcnt 0x0
	v_fmac_f16_e32 v1, v8, v9
	s_and_not1_b32 exec_lo, exec_lo, s3
	s_cbranch_execnz .LBB2_25
; %bb.26:
	s_or_b32 exec_lo, exec_lo, s3
.LBB2_27:
	s_delay_alu instid0(SALU_CYCLE_1) | instskip(SKIP_4) | instid1(VALU_DEP_1)
	s_or_b32 exec_lo, exec_lo, s8
	s_wait_xcnt 0x0
	s_load_b64 s[0:1], s[0:1], 0x50
	v_lshlrev_b32_e32 v0, 4, v12
	s_mov_b32 s2, exec_lo
	v_lshl_or_b32 v4, v13, 1, v0
	ds_store_b16 v4, v1
	s_wait_dscnt 0x0
	s_barrier_signal -1
	s_barrier_wait -1
	v_cmpx_gt_u32_e32 4, v13
	s_cbranch_execz .LBB2_29
; %bb.28:
	ds_load_u16 v1, v4
	ds_load_u16 v5, v4 offset:8
	s_wait_dscnt 0x0
	v_add_f16_e32 v1, v5, v1
	ds_store_b16 v4, v1
.LBB2_29:
	s_or_b32 exec_lo, exec_lo, s2
	s_delay_alu instid0(SALU_CYCLE_1)
	s_mov_b32 s2, exec_lo
	s_wait_dscnt 0x0
	s_barrier_signal -1
	s_barrier_wait -1
	v_cmpx_gt_u32_e32 2, v13
	s_cbranch_execz .LBB2_31
; %bb.30:
	ds_load_u16 v1, v4
	ds_load_u16 v5, v4 offset:4
	s_wait_dscnt 0x0
	v_add_f16_e32 v1, v5, v1
	ds_store_b16 v4, v1
.LBB2_31:
	s_or_b32 exec_lo, exec_lo, s2
	v_cmp_eq_u32_e32 vcc_lo, 0, v13
	s_wait_dscnt 0x0
	s_barrier_signal -1
	s_barrier_wait -1
	s_and_saveexec_b32 s2, vcc_lo
	s_cbranch_execz .LBB2_33
; %bb.32:
	ds_load_u16 v1, v4
	ds_load_u16 v5, v4 offset:2
	s_wait_dscnt 0x0
	v_add_f16_e32 v1, v5, v1
	ds_store_b16 v4, v1
.LBB2_33:
	s_or_b32 exec_lo, exec_lo, s2
	s_wait_dscnt 0x0
	s_barrier_signal -1
	s_barrier_wait -1
	s_and_b32 exec_lo, exec_lo, vcc_lo
	s_cbranch_execz .LBB2_35
; %bb.34:
	s_wait_kmcnt 0x0
	v_lshl_add_u64 v[2:3], v[2:3], 1, s[0:1]
	ds_load_u16 v0, v0
	global_load_u16 v1, v[2:3], off
	s_wait_dscnt 0x0
	v_mul_f16_e32 v0, v10, v0
	s_wait_loadcnt 0x0
	s_delay_alu instid0(VALU_DEP_1)
	v_fmac_f16_e32 v0, v11, v1
	global_store_b16 v[2:3], v0, off
.LBB2_35:
	s_endpgm
	.section	.rodata,"a",@progbits
	.p2align	6, 0x0
	.amdhsa_kernel _ZN9rocsparseL16sddmm_ell_kernelILi512ELi8EDF16_iiDF16_DF16_DF16_EEv20rocsparse_operation_S1_16rocsparse_order_S2_T3_S3_S3_T2_NS_24const_host_device_scalarIT1_EEPKT4_lPKT5_lS7_PT6_PKS3_21rocsparse_index_base_b
		.amdhsa_group_segment_fixed_size 1024
		.amdhsa_private_segment_fixed_size 0
		.amdhsa_kernarg_size 104
		.amdhsa_user_sgpr_count 2
		.amdhsa_user_sgpr_dispatch_ptr 0
		.amdhsa_user_sgpr_queue_ptr 0
		.amdhsa_user_sgpr_kernarg_segment_ptr 1
		.amdhsa_user_sgpr_dispatch_id 0
		.amdhsa_user_sgpr_kernarg_preload_length 0
		.amdhsa_user_sgpr_kernarg_preload_offset 0
		.amdhsa_user_sgpr_private_segment_size 0
		.amdhsa_wavefront_size32 1
		.amdhsa_uses_dynamic_stack 0
		.amdhsa_enable_private_segment 0
		.amdhsa_system_sgpr_workgroup_id_x 1
		.amdhsa_system_sgpr_workgroup_id_y 0
		.amdhsa_system_sgpr_workgroup_id_z 0
		.amdhsa_system_sgpr_workgroup_info 0
		.amdhsa_system_vgpr_workitem_id 0
		.amdhsa_next_free_vgpr 16
		.amdhsa_next_free_sgpr 15
		.amdhsa_named_barrier_count 0
		.amdhsa_reserve_vcc 1
		.amdhsa_float_round_mode_32 0
		.amdhsa_float_round_mode_16_64 0
		.amdhsa_float_denorm_mode_32 3
		.amdhsa_float_denorm_mode_16_64 3
		.amdhsa_fp16_overflow 0
		.amdhsa_memory_ordered 1
		.amdhsa_forward_progress 1
		.amdhsa_inst_pref_size 10
		.amdhsa_round_robin_scheduling 0
		.amdhsa_exception_fp_ieee_invalid_op 0
		.amdhsa_exception_fp_denorm_src 0
		.amdhsa_exception_fp_ieee_div_zero 0
		.amdhsa_exception_fp_ieee_overflow 0
		.amdhsa_exception_fp_ieee_underflow 0
		.amdhsa_exception_fp_ieee_inexact 0
		.amdhsa_exception_int_div_zero 0
	.end_amdhsa_kernel
	.section	.text._ZN9rocsparseL16sddmm_ell_kernelILi512ELi8EDF16_iiDF16_DF16_DF16_EEv20rocsparse_operation_S1_16rocsparse_order_S2_T3_S3_S3_T2_NS_24const_host_device_scalarIT1_EEPKT4_lPKT5_lS7_PT6_PKS3_21rocsparse_index_base_b,"axG",@progbits,_ZN9rocsparseL16sddmm_ell_kernelILi512ELi8EDF16_iiDF16_DF16_DF16_EEv20rocsparse_operation_S1_16rocsparse_order_S2_T3_S3_S3_T2_NS_24const_host_device_scalarIT1_EEPKT4_lPKT5_lS7_PT6_PKS3_21rocsparse_index_base_b,comdat
.Lfunc_end2:
	.size	_ZN9rocsparseL16sddmm_ell_kernelILi512ELi8EDF16_iiDF16_DF16_DF16_EEv20rocsparse_operation_S1_16rocsparse_order_S2_T3_S3_S3_T2_NS_24const_host_device_scalarIT1_EEPKT4_lPKT5_lS7_PT6_PKS3_21rocsparse_index_base_b, .Lfunc_end2-_ZN9rocsparseL16sddmm_ell_kernelILi512ELi8EDF16_iiDF16_DF16_DF16_EEv20rocsparse_operation_S1_16rocsparse_order_S2_T3_S3_S3_T2_NS_24const_host_device_scalarIT1_EEPKT4_lPKT5_lS7_PT6_PKS3_21rocsparse_index_base_b
                                        ; -- End function
	.set _ZN9rocsparseL16sddmm_ell_kernelILi512ELi8EDF16_iiDF16_DF16_DF16_EEv20rocsparse_operation_S1_16rocsparse_order_S2_T3_S3_S3_T2_NS_24const_host_device_scalarIT1_EEPKT4_lPKT5_lS7_PT6_PKS3_21rocsparse_index_base_b.num_vgpr, 16
	.set _ZN9rocsparseL16sddmm_ell_kernelILi512ELi8EDF16_iiDF16_DF16_DF16_EEv20rocsparse_operation_S1_16rocsparse_order_S2_T3_S3_S3_T2_NS_24const_host_device_scalarIT1_EEPKT4_lPKT5_lS7_PT6_PKS3_21rocsparse_index_base_b.num_agpr, 0
	.set _ZN9rocsparseL16sddmm_ell_kernelILi512ELi8EDF16_iiDF16_DF16_DF16_EEv20rocsparse_operation_S1_16rocsparse_order_S2_T3_S3_S3_T2_NS_24const_host_device_scalarIT1_EEPKT4_lPKT5_lS7_PT6_PKS3_21rocsparse_index_base_b.numbered_sgpr, 15
	.set _ZN9rocsparseL16sddmm_ell_kernelILi512ELi8EDF16_iiDF16_DF16_DF16_EEv20rocsparse_operation_S1_16rocsparse_order_S2_T3_S3_S3_T2_NS_24const_host_device_scalarIT1_EEPKT4_lPKT5_lS7_PT6_PKS3_21rocsparse_index_base_b.num_named_barrier, 0
	.set _ZN9rocsparseL16sddmm_ell_kernelILi512ELi8EDF16_iiDF16_DF16_DF16_EEv20rocsparse_operation_S1_16rocsparse_order_S2_T3_S3_S3_T2_NS_24const_host_device_scalarIT1_EEPKT4_lPKT5_lS7_PT6_PKS3_21rocsparse_index_base_b.private_seg_size, 0
	.set _ZN9rocsparseL16sddmm_ell_kernelILi512ELi8EDF16_iiDF16_DF16_DF16_EEv20rocsparse_operation_S1_16rocsparse_order_S2_T3_S3_S3_T2_NS_24const_host_device_scalarIT1_EEPKT4_lPKT5_lS7_PT6_PKS3_21rocsparse_index_base_b.uses_vcc, 1
	.set _ZN9rocsparseL16sddmm_ell_kernelILi512ELi8EDF16_iiDF16_DF16_DF16_EEv20rocsparse_operation_S1_16rocsparse_order_S2_T3_S3_S3_T2_NS_24const_host_device_scalarIT1_EEPKT4_lPKT5_lS7_PT6_PKS3_21rocsparse_index_base_b.uses_flat_scratch, 0
	.set _ZN9rocsparseL16sddmm_ell_kernelILi512ELi8EDF16_iiDF16_DF16_DF16_EEv20rocsparse_operation_S1_16rocsparse_order_S2_T3_S3_S3_T2_NS_24const_host_device_scalarIT1_EEPKT4_lPKT5_lS7_PT6_PKS3_21rocsparse_index_base_b.has_dyn_sized_stack, 0
	.set _ZN9rocsparseL16sddmm_ell_kernelILi512ELi8EDF16_iiDF16_DF16_DF16_EEv20rocsparse_operation_S1_16rocsparse_order_S2_T3_S3_S3_T2_NS_24const_host_device_scalarIT1_EEPKT4_lPKT5_lS7_PT6_PKS3_21rocsparse_index_base_b.has_recursion, 0
	.set _ZN9rocsparseL16sddmm_ell_kernelILi512ELi8EDF16_iiDF16_DF16_DF16_EEv20rocsparse_operation_S1_16rocsparse_order_S2_T3_S3_S3_T2_NS_24const_host_device_scalarIT1_EEPKT4_lPKT5_lS7_PT6_PKS3_21rocsparse_index_base_b.has_indirect_call, 0
	.section	.AMDGPU.csdata,"",@progbits
; Kernel info:
; codeLenInByte = 1204
; TotalNumSgprs: 17
; NumVgprs: 16
; ScratchSize: 0
; MemoryBound: 0
; FloatMode: 240
; IeeeMode: 1
; LDSByteSize: 1024 bytes/workgroup (compile time only)
; SGPRBlocks: 0
; VGPRBlocks: 0
; NumSGPRsForWavesPerEU: 17
; NumVGPRsForWavesPerEU: 16
; NamedBarCnt: 0
; Occupancy: 16
; WaveLimiterHint : 0
; COMPUTE_PGM_RSRC2:SCRATCH_EN: 0
; COMPUTE_PGM_RSRC2:USER_SGPR: 2
; COMPUTE_PGM_RSRC2:TRAP_HANDLER: 0
; COMPUTE_PGM_RSRC2:TGID_X_EN: 1
; COMPUTE_PGM_RSRC2:TGID_Y_EN: 0
; COMPUTE_PGM_RSRC2:TGID_Z_EN: 0
; COMPUTE_PGM_RSRC2:TIDIG_COMP_CNT: 0
	.section	.text._ZN9rocsparseL16sddmm_ell_kernelILi512ELi4EDF16_iiDF16_DF16_DF16_EEv20rocsparse_operation_S1_16rocsparse_order_S2_T3_S3_S3_T2_NS_24const_host_device_scalarIT1_EEPKT4_lPKT5_lS7_PT6_PKS3_21rocsparse_index_base_b,"axG",@progbits,_ZN9rocsparseL16sddmm_ell_kernelILi512ELi4EDF16_iiDF16_DF16_DF16_EEv20rocsparse_operation_S1_16rocsparse_order_S2_T3_S3_S3_T2_NS_24const_host_device_scalarIT1_EEPKT4_lPKT5_lS7_PT6_PKS3_21rocsparse_index_base_b,comdat
	.globl	_ZN9rocsparseL16sddmm_ell_kernelILi512ELi4EDF16_iiDF16_DF16_DF16_EEv20rocsparse_operation_S1_16rocsparse_order_S2_T3_S3_S3_T2_NS_24const_host_device_scalarIT1_EEPKT4_lPKT5_lS7_PT6_PKS3_21rocsparse_index_base_b ; -- Begin function _ZN9rocsparseL16sddmm_ell_kernelILi512ELi4EDF16_iiDF16_DF16_DF16_EEv20rocsparse_operation_S1_16rocsparse_order_S2_T3_S3_S3_T2_NS_24const_host_device_scalarIT1_EEPKT4_lPKT5_lS7_PT6_PKS3_21rocsparse_index_base_b
	.p2align	8
	.type	_ZN9rocsparseL16sddmm_ell_kernelILi512ELi4EDF16_iiDF16_DF16_DF16_EEv20rocsparse_operation_S1_16rocsparse_order_S2_T3_S3_S3_T2_NS_24const_host_device_scalarIT1_EEPKT4_lPKT5_lS7_PT6_PKS3_21rocsparse_index_base_b,@function
_ZN9rocsparseL16sddmm_ell_kernelILi512ELi4EDF16_iiDF16_DF16_DF16_EEv20rocsparse_operation_S1_16rocsparse_order_S2_T3_S3_S3_T2_NS_24const_host_device_scalarIT1_EEPKT4_lPKT5_lS7_PT6_PKS3_21rocsparse_index_base_b: ; @_ZN9rocsparseL16sddmm_ell_kernelILi512ELi4EDF16_iiDF16_DF16_DF16_EEv20rocsparse_operation_S1_16rocsparse_order_S2_T3_S3_S3_T2_NS_24const_host_device_scalarIT1_EEPKT4_lPKT5_lS7_PT6_PKS3_21rocsparse_index_base_b
; %bb.0:
	s_clause 0x2
	s_load_b64 s[8:9], s[0:1], 0x60
	s_load_b64 s[2:3], s[0:1], 0x20
	s_load_b128 s[4:7], s[0:1], 0x40
	s_wait_kmcnt 0x0
	s_bitcmp1_b32 s9, 0
	v_mov_b32_e32 v10, s2
	s_cselect_b32 s9, -1, 0
	s_delay_alu instid0(SALU_CYCLE_1)
	s_and_b32 vcc_lo, exec_lo, s9
	s_xor_b32 s9, s9, -1
	s_cbranch_vccnz .LBB3_2
; %bb.1:
	v_mov_b32_e32 v1, 0
	global_load_u16 v10, v1, s[2:3]
.LBB3_2:
	v_mov_b32_e32 v11, s6
	s_and_not1_b32 vcc_lo, exec_lo, s9
	s_cbranch_vccnz .LBB3_4
; %bb.3:
	s_wait_xcnt 0x0
	v_mov_b32_e32 v1, 0
	global_load_u16 v11, v1, s[6:7]
.LBB3_4:
	s_wait_loadcnt 0x0
	v_cmp_eq_f16_e32 vcc_lo, 0, v10
	v_cmp_eq_f16_e64 s2, 1.0, v11
	s_and_b32 s2, vcc_lo, s2
	s_delay_alu instid0(SALU_CYCLE_1)
	s_and_b32 vcc_lo, exec_lo, s2
	s_cbranch_vccnz .LBB3_33
; %bb.5:
	s_load_b64 s[2:3], s[0:1], 0x18
	s_bfe_u32 s6, ttmp6, 0x4000c
	s_and_b32 s7, ttmp6, 15
	s_add_co_i32 s6, s6, 1
	s_getreg_b32 s9, hwreg(HW_REG_IB_STS2, 6, 4)
	s_mul_i32 s6, ttmp9, s6
	v_lshrrev_b32_e32 v12, 2, v0
	s_add_co_i32 s7, s7, s6
	s_cmp_eq_u32 s9, 0
	s_cselect_b32 s6, ttmp9, s7
	s_delay_alu instid0(VALU_DEP_1) | instid1(SALU_CYCLE_1)
	v_lshl_or_b32 v2, s6, 7, v12
	s_wait_kmcnt 0x0
	s_delay_alu instid0(VALU_DEP_1)
	v_cmp_gt_i32_e32 vcc_lo, s3, v2
	s_and_saveexec_b32 s3, vcc_lo
	s_cbranch_execz .LBB3_33
; %bb.6:
	s_load_b64 s[6:7], s[0:1], 0x58
	s_mov_b32 s13, -1
	s_wait_kmcnt 0x0
	global_load_b32 v1, v2, s[6:7] scale_offset
	s_wait_loadcnt 0x0
	v_subrev_nc_u32_e32 v4, s8, v1
	s_delay_alu instid0(VALU_DEP_1)
	v_cmp_lt_i32_e32 vcc_lo, -1, v4
	s_and_b32 exec_lo, exec_lo, vcc_lo
	s_cbranch_execz .LBB3_33
; %bb.7:
	s_clause 0x1
	s_load_b128 s[8:11], s[0:1], 0x0
	s_load_b32 s6, s[0:1], 0x10
                                        ; implicit-def: $vgpr6_vgpr7
	s_wait_kmcnt 0x0
	s_cmp_eq_u32 s10, 1
	s_cselect_b32 s3, -1, 0
	s_cmp_eq_u32 s8, 0x6f
	s_cselect_b32 s12, -1, 0
	s_cmp_lg_u32 s8, 0x6f
	s_cselect_b32 s8, -1, 0
	s_abs_i32 s14, s6
	s_delay_alu instid0(SALU_CYCLE_1) | instskip(SKIP_1) | instid1(SALU_CYCLE_2)
	s_cvt_f32_u32 s6, s14
	s_sub_co_i32 s7, 0, s14
	v_rcp_iflag_f32_e32 v1, s6
	v_nop
	s_delay_alu instid0(TRANS32_DEP_1) | instskip(SKIP_2) | instid1(VALU_DEP_1)
	v_readfirstlane_b32 s6, v1
	v_sub_nc_u32_e32 v1, 0, v2
	s_mul_f32 s6, s6, 0x4f7ffffe
	v_max_i32_e32 v1, v2, v1
	s_delay_alu instid0(SALU_CYCLE_2) | instskip(NEXT) | instid1(SALU_CYCLE_3)
	s_cvt_u32_f32 s6, s6
	s_mul_i32 s7, s7, s6
	s_delay_alu instid0(SALU_CYCLE_1) | instskip(NEXT) | instid1(SALU_CYCLE_1)
	s_mul_hi_u32 s7, s6, s7
	s_add_co_i32 s6, s6, s7
	s_cmp_lg_u32 s10, 1
	v_mul_hi_u32 v3, v1, s6
	s_load_b64 s[6:7], s[0:1], 0x30
	s_delay_alu instid0(VALU_DEP_1) | instskip(NEXT) | instid1(VALU_DEP_1)
	v_mul_lo_u32 v3, v3, s14
	v_sub_nc_u32_e32 v1, v1, v3
	s_delay_alu instid0(VALU_DEP_1) | instskip(SKIP_1) | instid1(VALU_DEP_2)
	v_subrev_nc_u32_e32 v3, s14, v1
	v_cmp_le_u32_e32 vcc_lo, s14, v1
	v_dual_cndmask_b32 v1, v1, v3, vcc_lo :: v_dual_ashrrev_i32 v3, 31, v2
	s_delay_alu instid0(VALU_DEP_1) | instskip(SKIP_1) | instid1(VALU_DEP_2)
	v_subrev_nc_u32_e32 v5, s14, v1
	v_cmp_le_u32_e32 vcc_lo, s14, v1
	v_cndmask_b32_e32 v1, v1, v5, vcc_lo
	s_delay_alu instid0(VALU_DEP_1) | instskip(NEXT) | instid1(VALU_DEP_1)
	v_xor_b32_e32 v1, v1, v3
	v_sub_nc_u32_e32 v8, v1, v3
	s_delay_alu instid0(VALU_DEP_1)
	v_ashrrev_i32_e32 v9, 31, v8
	s_cbranch_scc0 .LBB3_11
; %bb.8:
	s_delay_alu instid0(VALU_DEP_1)
	v_mov_b64_e32 v[6:7], v[8:9]
	s_and_not1_b32 vcc_lo, exec_lo, s12
	s_cbranch_vccnz .LBB3_10
; %bb.9:
	s_wait_kmcnt 0x0
	v_mul_u64_e32 v[6:7], s[6:7], v[8:9]
.LBB3_10:
	s_mov_b32 s13, 0
.LBB3_11:
	s_delay_alu instid0(SALU_CYCLE_1)
	s_and_not1_b32 vcc_lo, exec_lo, s13
	s_cbranch_vccnz .LBB3_15
; %bb.12:
	s_and_not1_b32 vcc_lo, exec_lo, s8
	s_cbranch_vccnz .LBB3_14
; %bb.13:
	s_wait_kmcnt 0x0
	v_mul_u64_e32 v[8:9], s[6:7], v[8:9]
.LBB3_14:
	s_delay_alu instid0(VALU_DEP_1)
	v_mov_b64_e32 v[6:7], v[8:9]
.LBB3_15:
	s_cmp_eq_u32 s11, 1
	v_mov_b32_e32 v5, 0
	s_cselect_b32 s10, -1, 0
	s_cmp_eq_u32 s9, 0x6f
	s_cselect_b32 s13, -1, 0
	s_cmp_lg_u32 s9, 0x6f
	s_cselect_b32 s8, -1, 0
	s_cmp_lg_u32 s11, 1
	s_cbranch_scc0 .LBB3_19
; %bb.16:
	v_mov_b64_e32 v[8:9], v[4:5]
	s_and_not1_b32 vcc_lo, exec_lo, s8
	s_cbranch_vccnz .LBB3_18
; %bb.17:
	v_mul_u64_e32 v[8:9], s[4:5], v[4:5]
.LBB3_18:
	s_cbranch_execz .LBB3_20
	s_branch .LBB3_23
.LBB3_19:
                                        ; implicit-def: $vgpr8_vgpr9
.LBB3_20:
	s_and_not1_b32 vcc_lo, exec_lo, s13
	s_cbranch_vccnz .LBB3_22
; %bb.21:
	v_mul_u64_e32 v[4:5], s[4:5], v[4:5]
.LBB3_22:
	s_delay_alu instid0(VALU_DEP_1)
	v_mov_b64_e32 v[8:9], v[4:5]
.LBB3_23:
	v_dual_mov_b32 v1, 0 :: v_dual_bitop2_b32 v13, 3, v0 bitop3:0x40
	s_mov_b32 s8, exec_lo
	s_delay_alu instid0(VALU_DEP_1)
	v_cmpx_gt_i32_e64 s2, v13
	s_cbranch_execz .LBB3_27
; %bb.24:
	s_xor_b32 s3, s12, s3
	v_dual_mov_b32 v1, 0 :: v_dual_bitop2_b32 v0, 3, v0 bitop3:0x40
	s_and_b32 s3, s3, exec_lo
	s_wait_kmcnt 0x0
	s_cselect_b32 s7, 0, s7
	s_cselect_b32 s6, 1, s6
	s_xor_b32 s3, s13, s10
	v_mul_u64_e32 v[4:5], s[6:7], v[0:1]
	s_and_b32 s3, s3, exec_lo
	s_cselect_b32 s11, s5, 0
	s_cselect_b32 s10, s4, 1
	s_clause 0x1
	s_load_b64 s[4:5], s[0:1], 0x28
	s_load_b64 s[12:13], s[0:1], 0x38
	v_mul_u64_e32 v[14:15], s[10:11], v[0:1]
	v_lshlrev_b64_e32 v[6:7], 1, v[6:7]
	v_lshlrev_b64_e32 v[8:9], 1, v[8:9]
	v_mov_b32_e32 v0, v13
	s_mov_b32 s3, 0
	s_delay_alu instid0(VALU_DEP_3) | instskip(NEXT) | instid1(VALU_DEP_3)
	v_lshl_add_u64 v[4:5], v[4:5], 1, v[6:7]
	v_lshl_add_u64 v[6:7], v[14:15], 1, v[8:9]
	s_wait_kmcnt 0x0
	s_delay_alu instid0(VALU_DEP_2)
	v_add_nc_u64_e32 v[4:5], s[4:5], v[4:5]
	s_lshl_b64 s[4:5], s[6:7], 3
	s_lshl_b64 s[6:7], s[10:11], 3
	v_add_nc_u64_e32 v[6:7], s[12:13], v[6:7]
.LBB3_25:                               ; =>This Inner Loop Header: Depth=1
	global_load_u16 v8, v[4:5], off
	global_load_u16 v9, v[6:7], off
	v_add_nc_u32_e32 v0, 4, v0
	s_wait_xcnt 0x1
	v_add_nc_u64_e32 v[4:5], s[4:5], v[4:5]
	s_wait_xcnt 0x0
	v_add_nc_u64_e32 v[6:7], s[6:7], v[6:7]
	v_cmp_le_i32_e32 vcc_lo, s2, v0
	s_or_b32 s3, vcc_lo, s3
	s_wait_loadcnt 0x0
	v_fmac_f16_e32 v1, v8, v9
	s_and_not1_b32 exec_lo, exec_lo, s3
	s_cbranch_execnz .LBB3_25
; %bb.26:
	s_or_b32 exec_lo, exec_lo, s3
.LBB3_27:
	s_delay_alu instid0(SALU_CYCLE_1) | instskip(SKIP_4) | instid1(VALU_DEP_1)
	s_or_b32 exec_lo, exec_lo, s8
	s_wait_xcnt 0x0
	s_load_b64 s[0:1], s[0:1], 0x50
	v_lshlrev_b32_e32 v0, 3, v12
	s_mov_b32 s2, exec_lo
	v_lshl_or_b32 v4, v13, 1, v0
	ds_store_b16 v4, v1
	s_wait_dscnt 0x0
	s_barrier_signal -1
	s_barrier_wait -1
	v_cmpx_gt_u32_e32 2, v13
	s_cbranch_execz .LBB3_29
; %bb.28:
	ds_load_u16 v1, v4
	ds_load_u16 v5, v4 offset:4
	s_wait_dscnt 0x0
	v_add_f16_e32 v1, v5, v1
	ds_store_b16 v4, v1
.LBB3_29:
	s_or_b32 exec_lo, exec_lo, s2
	v_cmp_eq_u32_e32 vcc_lo, 0, v13
	s_wait_dscnt 0x0
	s_barrier_signal -1
	s_barrier_wait -1
	s_and_saveexec_b32 s2, vcc_lo
	s_cbranch_execz .LBB3_31
; %bb.30:
	ds_load_u16 v1, v4
	ds_load_u16 v5, v4 offset:2
	s_wait_dscnt 0x0
	v_add_f16_e32 v1, v5, v1
	ds_store_b16 v4, v1
.LBB3_31:
	s_or_b32 exec_lo, exec_lo, s2
	s_wait_dscnt 0x0
	s_barrier_signal -1
	s_barrier_wait -1
	s_and_b32 exec_lo, exec_lo, vcc_lo
	s_cbranch_execz .LBB3_33
; %bb.32:
	s_wait_kmcnt 0x0
	v_lshl_add_u64 v[2:3], v[2:3], 1, s[0:1]
	ds_load_u16 v0, v0
	global_load_u16 v1, v[2:3], off
	s_wait_dscnt 0x0
	v_mul_f16_e32 v0, v10, v0
	s_wait_loadcnt 0x0
	s_delay_alu instid0(VALU_DEP_1)
	v_fmac_f16_e32 v0, v11, v1
	global_store_b16 v[2:3], v0, off
.LBB3_33:
	s_endpgm
	.section	.rodata,"a",@progbits
	.p2align	6, 0x0
	.amdhsa_kernel _ZN9rocsparseL16sddmm_ell_kernelILi512ELi4EDF16_iiDF16_DF16_DF16_EEv20rocsparse_operation_S1_16rocsparse_order_S2_T3_S3_S3_T2_NS_24const_host_device_scalarIT1_EEPKT4_lPKT5_lS7_PT6_PKS3_21rocsparse_index_base_b
		.amdhsa_group_segment_fixed_size 1024
		.amdhsa_private_segment_fixed_size 0
		.amdhsa_kernarg_size 104
		.amdhsa_user_sgpr_count 2
		.amdhsa_user_sgpr_dispatch_ptr 0
		.amdhsa_user_sgpr_queue_ptr 0
		.amdhsa_user_sgpr_kernarg_segment_ptr 1
		.amdhsa_user_sgpr_dispatch_id 0
		.amdhsa_user_sgpr_kernarg_preload_length 0
		.amdhsa_user_sgpr_kernarg_preload_offset 0
		.amdhsa_user_sgpr_private_segment_size 0
		.amdhsa_wavefront_size32 1
		.amdhsa_uses_dynamic_stack 0
		.amdhsa_enable_private_segment 0
		.amdhsa_system_sgpr_workgroup_id_x 1
		.amdhsa_system_sgpr_workgroup_id_y 0
		.amdhsa_system_sgpr_workgroup_id_z 0
		.amdhsa_system_sgpr_workgroup_info 0
		.amdhsa_system_vgpr_workitem_id 0
		.amdhsa_next_free_vgpr 16
		.amdhsa_next_free_sgpr 15
		.amdhsa_named_barrier_count 0
		.amdhsa_reserve_vcc 1
		.amdhsa_float_round_mode_32 0
		.amdhsa_float_round_mode_16_64 0
		.amdhsa_float_denorm_mode_32 3
		.amdhsa_float_denorm_mode_16_64 3
		.amdhsa_fp16_overflow 0
		.amdhsa_memory_ordered 1
		.amdhsa_forward_progress 1
		.amdhsa_inst_pref_size 9
		.amdhsa_round_robin_scheduling 0
		.amdhsa_exception_fp_ieee_invalid_op 0
		.amdhsa_exception_fp_denorm_src 0
		.amdhsa_exception_fp_ieee_div_zero 0
		.amdhsa_exception_fp_ieee_overflow 0
		.amdhsa_exception_fp_ieee_underflow 0
		.amdhsa_exception_fp_ieee_inexact 0
		.amdhsa_exception_int_div_zero 0
	.end_amdhsa_kernel
	.section	.text._ZN9rocsparseL16sddmm_ell_kernelILi512ELi4EDF16_iiDF16_DF16_DF16_EEv20rocsparse_operation_S1_16rocsparse_order_S2_T3_S3_S3_T2_NS_24const_host_device_scalarIT1_EEPKT4_lPKT5_lS7_PT6_PKS3_21rocsparse_index_base_b,"axG",@progbits,_ZN9rocsparseL16sddmm_ell_kernelILi512ELi4EDF16_iiDF16_DF16_DF16_EEv20rocsparse_operation_S1_16rocsparse_order_S2_T3_S3_S3_T2_NS_24const_host_device_scalarIT1_EEPKT4_lPKT5_lS7_PT6_PKS3_21rocsparse_index_base_b,comdat
.Lfunc_end3:
	.size	_ZN9rocsparseL16sddmm_ell_kernelILi512ELi4EDF16_iiDF16_DF16_DF16_EEv20rocsparse_operation_S1_16rocsparse_order_S2_T3_S3_S3_T2_NS_24const_host_device_scalarIT1_EEPKT4_lPKT5_lS7_PT6_PKS3_21rocsparse_index_base_b, .Lfunc_end3-_ZN9rocsparseL16sddmm_ell_kernelILi512ELi4EDF16_iiDF16_DF16_DF16_EEv20rocsparse_operation_S1_16rocsparse_order_S2_T3_S3_S3_T2_NS_24const_host_device_scalarIT1_EEPKT4_lPKT5_lS7_PT6_PKS3_21rocsparse_index_base_b
                                        ; -- End function
	.set _ZN9rocsparseL16sddmm_ell_kernelILi512ELi4EDF16_iiDF16_DF16_DF16_EEv20rocsparse_operation_S1_16rocsparse_order_S2_T3_S3_S3_T2_NS_24const_host_device_scalarIT1_EEPKT4_lPKT5_lS7_PT6_PKS3_21rocsparse_index_base_b.num_vgpr, 16
	.set _ZN9rocsparseL16sddmm_ell_kernelILi512ELi4EDF16_iiDF16_DF16_DF16_EEv20rocsparse_operation_S1_16rocsparse_order_S2_T3_S3_S3_T2_NS_24const_host_device_scalarIT1_EEPKT4_lPKT5_lS7_PT6_PKS3_21rocsparse_index_base_b.num_agpr, 0
	.set _ZN9rocsparseL16sddmm_ell_kernelILi512ELi4EDF16_iiDF16_DF16_DF16_EEv20rocsparse_operation_S1_16rocsparse_order_S2_T3_S3_S3_T2_NS_24const_host_device_scalarIT1_EEPKT4_lPKT5_lS7_PT6_PKS3_21rocsparse_index_base_b.numbered_sgpr, 15
	.set _ZN9rocsparseL16sddmm_ell_kernelILi512ELi4EDF16_iiDF16_DF16_DF16_EEv20rocsparse_operation_S1_16rocsparse_order_S2_T3_S3_S3_T2_NS_24const_host_device_scalarIT1_EEPKT4_lPKT5_lS7_PT6_PKS3_21rocsparse_index_base_b.num_named_barrier, 0
	.set _ZN9rocsparseL16sddmm_ell_kernelILi512ELi4EDF16_iiDF16_DF16_DF16_EEv20rocsparse_operation_S1_16rocsparse_order_S2_T3_S3_S3_T2_NS_24const_host_device_scalarIT1_EEPKT4_lPKT5_lS7_PT6_PKS3_21rocsparse_index_base_b.private_seg_size, 0
	.set _ZN9rocsparseL16sddmm_ell_kernelILi512ELi4EDF16_iiDF16_DF16_DF16_EEv20rocsparse_operation_S1_16rocsparse_order_S2_T3_S3_S3_T2_NS_24const_host_device_scalarIT1_EEPKT4_lPKT5_lS7_PT6_PKS3_21rocsparse_index_base_b.uses_vcc, 1
	.set _ZN9rocsparseL16sddmm_ell_kernelILi512ELi4EDF16_iiDF16_DF16_DF16_EEv20rocsparse_operation_S1_16rocsparse_order_S2_T3_S3_S3_T2_NS_24const_host_device_scalarIT1_EEPKT4_lPKT5_lS7_PT6_PKS3_21rocsparse_index_base_b.uses_flat_scratch, 0
	.set _ZN9rocsparseL16sddmm_ell_kernelILi512ELi4EDF16_iiDF16_DF16_DF16_EEv20rocsparse_operation_S1_16rocsparse_order_S2_T3_S3_S3_T2_NS_24const_host_device_scalarIT1_EEPKT4_lPKT5_lS7_PT6_PKS3_21rocsparse_index_base_b.has_dyn_sized_stack, 0
	.set _ZN9rocsparseL16sddmm_ell_kernelILi512ELi4EDF16_iiDF16_DF16_DF16_EEv20rocsparse_operation_S1_16rocsparse_order_S2_T3_S3_S3_T2_NS_24const_host_device_scalarIT1_EEPKT4_lPKT5_lS7_PT6_PKS3_21rocsparse_index_base_b.has_recursion, 0
	.set _ZN9rocsparseL16sddmm_ell_kernelILi512ELi4EDF16_iiDF16_DF16_DF16_EEv20rocsparse_operation_S1_16rocsparse_order_S2_T3_S3_S3_T2_NS_24const_host_device_scalarIT1_EEPKT4_lPKT5_lS7_PT6_PKS3_21rocsparse_index_base_b.has_indirect_call, 0
	.section	.AMDGPU.csdata,"",@progbits
; Kernel info:
; codeLenInByte = 1140
; TotalNumSgprs: 17
; NumVgprs: 16
; ScratchSize: 0
; MemoryBound: 0
; FloatMode: 240
; IeeeMode: 1
; LDSByteSize: 1024 bytes/workgroup (compile time only)
; SGPRBlocks: 0
; VGPRBlocks: 0
; NumSGPRsForWavesPerEU: 17
; NumVGPRsForWavesPerEU: 16
; NamedBarCnt: 0
; Occupancy: 16
; WaveLimiterHint : 0
; COMPUTE_PGM_RSRC2:SCRATCH_EN: 0
; COMPUTE_PGM_RSRC2:USER_SGPR: 2
; COMPUTE_PGM_RSRC2:TRAP_HANDLER: 0
; COMPUTE_PGM_RSRC2:TGID_X_EN: 1
; COMPUTE_PGM_RSRC2:TGID_Y_EN: 0
; COMPUTE_PGM_RSRC2:TGID_Z_EN: 0
; COMPUTE_PGM_RSRC2:TIDIG_COMP_CNT: 0
	.section	.text._ZN9rocsparseL16sddmm_ell_kernelILi512ELi2EDF16_iiDF16_DF16_DF16_EEv20rocsparse_operation_S1_16rocsparse_order_S2_T3_S3_S3_T2_NS_24const_host_device_scalarIT1_EEPKT4_lPKT5_lS7_PT6_PKS3_21rocsparse_index_base_b,"axG",@progbits,_ZN9rocsparseL16sddmm_ell_kernelILi512ELi2EDF16_iiDF16_DF16_DF16_EEv20rocsparse_operation_S1_16rocsparse_order_S2_T3_S3_S3_T2_NS_24const_host_device_scalarIT1_EEPKT4_lPKT5_lS7_PT6_PKS3_21rocsparse_index_base_b,comdat
	.globl	_ZN9rocsparseL16sddmm_ell_kernelILi512ELi2EDF16_iiDF16_DF16_DF16_EEv20rocsparse_operation_S1_16rocsparse_order_S2_T3_S3_S3_T2_NS_24const_host_device_scalarIT1_EEPKT4_lPKT5_lS7_PT6_PKS3_21rocsparse_index_base_b ; -- Begin function _ZN9rocsparseL16sddmm_ell_kernelILi512ELi2EDF16_iiDF16_DF16_DF16_EEv20rocsparse_operation_S1_16rocsparse_order_S2_T3_S3_S3_T2_NS_24const_host_device_scalarIT1_EEPKT4_lPKT5_lS7_PT6_PKS3_21rocsparse_index_base_b
	.p2align	8
	.type	_ZN9rocsparseL16sddmm_ell_kernelILi512ELi2EDF16_iiDF16_DF16_DF16_EEv20rocsparse_operation_S1_16rocsparse_order_S2_T3_S3_S3_T2_NS_24const_host_device_scalarIT1_EEPKT4_lPKT5_lS7_PT6_PKS3_21rocsparse_index_base_b,@function
_ZN9rocsparseL16sddmm_ell_kernelILi512ELi2EDF16_iiDF16_DF16_DF16_EEv20rocsparse_operation_S1_16rocsparse_order_S2_T3_S3_S3_T2_NS_24const_host_device_scalarIT1_EEPKT4_lPKT5_lS7_PT6_PKS3_21rocsparse_index_base_b: ; @_ZN9rocsparseL16sddmm_ell_kernelILi512ELi2EDF16_iiDF16_DF16_DF16_EEv20rocsparse_operation_S1_16rocsparse_order_S2_T3_S3_S3_T2_NS_24const_host_device_scalarIT1_EEPKT4_lPKT5_lS7_PT6_PKS3_21rocsparse_index_base_b
; %bb.0:
	s_clause 0x2
	s_load_b64 s[8:9], s[0:1], 0x60
	s_load_b64 s[2:3], s[0:1], 0x20
	s_load_b128 s[4:7], s[0:1], 0x40
	s_wait_kmcnt 0x0
	s_bitcmp1_b32 s9, 0
	v_mov_b32_e32 v10, s2
	s_cselect_b32 s9, -1, 0
	s_delay_alu instid0(SALU_CYCLE_1)
	s_and_b32 vcc_lo, exec_lo, s9
	s_xor_b32 s9, s9, -1
	s_cbranch_vccnz .LBB4_2
; %bb.1:
	v_mov_b32_e32 v1, 0
	global_load_u16 v10, v1, s[2:3]
.LBB4_2:
	v_mov_b32_e32 v11, s6
	s_and_not1_b32 vcc_lo, exec_lo, s9
	s_cbranch_vccnz .LBB4_4
; %bb.3:
	s_wait_xcnt 0x0
	v_mov_b32_e32 v1, 0
	global_load_u16 v11, v1, s[6:7]
.LBB4_4:
	s_wait_loadcnt 0x0
	v_cmp_eq_f16_e32 vcc_lo, 0, v10
	v_cmp_eq_f16_e64 s2, 1.0, v11
	s_and_b32 s2, vcc_lo, s2
	s_delay_alu instid0(SALU_CYCLE_1)
	s_and_b32 vcc_lo, exec_lo, s2
	s_cbranch_vccnz .LBB4_31
; %bb.5:
	s_load_b64 s[2:3], s[0:1], 0x18
	s_bfe_u32 s6, ttmp6, 0x4000c
	s_and_b32 s7, ttmp6, 15
	s_add_co_i32 s6, s6, 1
	s_getreg_b32 s9, hwreg(HW_REG_IB_STS2, 6, 4)
	s_mul_i32 s6, ttmp9, s6
	v_lshrrev_b32_e32 v12, 1, v0
	s_add_co_i32 s7, s7, s6
	s_cmp_eq_u32 s9, 0
	s_cselect_b32 s6, ttmp9, s7
	s_delay_alu instid0(VALU_DEP_1) | instid1(SALU_CYCLE_1)
	v_lshl_or_b32 v2, s6, 8, v12
	s_wait_kmcnt 0x0
	s_delay_alu instid0(VALU_DEP_1)
	v_cmp_gt_i32_e32 vcc_lo, s3, v2
	s_and_saveexec_b32 s3, vcc_lo
	s_cbranch_execz .LBB4_31
; %bb.6:
	s_load_b64 s[6:7], s[0:1], 0x58
	s_mov_b32 s13, -1
	s_wait_kmcnt 0x0
	global_load_b32 v1, v2, s[6:7] scale_offset
	s_wait_loadcnt 0x0
	v_subrev_nc_u32_e32 v4, s8, v1
	s_delay_alu instid0(VALU_DEP_1)
	v_cmp_lt_i32_e32 vcc_lo, -1, v4
	s_and_b32 exec_lo, exec_lo, vcc_lo
	s_cbranch_execz .LBB4_31
; %bb.7:
	s_clause 0x1
	s_load_b128 s[8:11], s[0:1], 0x0
	s_load_b32 s6, s[0:1], 0x10
                                        ; implicit-def: $vgpr6_vgpr7
	s_wait_kmcnt 0x0
	s_cmp_eq_u32 s10, 1
	s_cselect_b32 s3, -1, 0
	s_cmp_eq_u32 s8, 0x6f
	s_cselect_b32 s12, -1, 0
	s_cmp_lg_u32 s8, 0x6f
	s_cselect_b32 s8, -1, 0
	s_abs_i32 s14, s6
	s_delay_alu instid0(SALU_CYCLE_1) | instskip(SKIP_1) | instid1(SALU_CYCLE_2)
	s_cvt_f32_u32 s6, s14
	s_sub_co_i32 s7, 0, s14
	v_rcp_iflag_f32_e32 v1, s6
	v_nop
	s_delay_alu instid0(TRANS32_DEP_1) | instskip(SKIP_2) | instid1(VALU_DEP_1)
	v_readfirstlane_b32 s6, v1
	v_sub_nc_u32_e32 v1, 0, v2
	s_mul_f32 s6, s6, 0x4f7ffffe
	v_max_i32_e32 v1, v2, v1
	s_delay_alu instid0(SALU_CYCLE_2) | instskip(NEXT) | instid1(SALU_CYCLE_3)
	s_cvt_u32_f32 s6, s6
	s_mul_i32 s7, s7, s6
	s_delay_alu instid0(SALU_CYCLE_1) | instskip(NEXT) | instid1(SALU_CYCLE_1)
	s_mul_hi_u32 s7, s6, s7
	s_add_co_i32 s6, s6, s7
	s_cmp_lg_u32 s10, 1
	v_mul_hi_u32 v3, v1, s6
	s_load_b64 s[6:7], s[0:1], 0x30
	s_delay_alu instid0(VALU_DEP_1) | instskip(NEXT) | instid1(VALU_DEP_1)
	v_mul_lo_u32 v3, v3, s14
	v_sub_nc_u32_e32 v1, v1, v3
	s_delay_alu instid0(VALU_DEP_1) | instskip(SKIP_1) | instid1(VALU_DEP_2)
	v_subrev_nc_u32_e32 v3, s14, v1
	v_cmp_le_u32_e32 vcc_lo, s14, v1
	v_dual_cndmask_b32 v1, v1, v3, vcc_lo :: v_dual_ashrrev_i32 v3, 31, v2
	s_delay_alu instid0(VALU_DEP_1) | instskip(SKIP_1) | instid1(VALU_DEP_2)
	v_subrev_nc_u32_e32 v5, s14, v1
	v_cmp_le_u32_e32 vcc_lo, s14, v1
	v_cndmask_b32_e32 v1, v1, v5, vcc_lo
	s_delay_alu instid0(VALU_DEP_1) | instskip(NEXT) | instid1(VALU_DEP_1)
	v_xor_b32_e32 v1, v1, v3
	v_sub_nc_u32_e32 v8, v1, v3
	s_delay_alu instid0(VALU_DEP_1)
	v_ashrrev_i32_e32 v9, 31, v8
	s_cbranch_scc0 .LBB4_11
; %bb.8:
	s_delay_alu instid0(VALU_DEP_1)
	v_mov_b64_e32 v[6:7], v[8:9]
	s_and_not1_b32 vcc_lo, exec_lo, s12
	s_cbranch_vccnz .LBB4_10
; %bb.9:
	s_wait_kmcnt 0x0
	v_mul_u64_e32 v[6:7], s[6:7], v[8:9]
.LBB4_10:
	s_mov_b32 s13, 0
.LBB4_11:
	s_delay_alu instid0(SALU_CYCLE_1)
	s_and_not1_b32 vcc_lo, exec_lo, s13
	s_cbranch_vccnz .LBB4_15
; %bb.12:
	s_and_not1_b32 vcc_lo, exec_lo, s8
	s_cbranch_vccnz .LBB4_14
; %bb.13:
	s_wait_kmcnt 0x0
	v_mul_u64_e32 v[8:9], s[6:7], v[8:9]
.LBB4_14:
	s_delay_alu instid0(VALU_DEP_1)
	v_mov_b64_e32 v[6:7], v[8:9]
.LBB4_15:
	s_cmp_eq_u32 s11, 1
	v_mov_b32_e32 v5, 0
	s_cselect_b32 s10, -1, 0
	s_cmp_eq_u32 s9, 0x6f
	s_cselect_b32 s13, -1, 0
	s_cmp_lg_u32 s9, 0x6f
	s_cselect_b32 s8, -1, 0
	s_cmp_lg_u32 s11, 1
	s_cbranch_scc0 .LBB4_19
; %bb.16:
	v_mov_b64_e32 v[8:9], v[4:5]
	s_and_not1_b32 vcc_lo, exec_lo, s8
	s_cbranch_vccnz .LBB4_18
; %bb.17:
	v_mul_u64_e32 v[8:9], s[4:5], v[4:5]
.LBB4_18:
	s_cbranch_execz .LBB4_20
	s_branch .LBB4_23
.LBB4_19:
                                        ; implicit-def: $vgpr8_vgpr9
.LBB4_20:
	s_and_not1_b32 vcc_lo, exec_lo, s13
	s_cbranch_vccnz .LBB4_22
; %bb.21:
	v_mul_u64_e32 v[4:5], s[4:5], v[4:5]
.LBB4_22:
	s_delay_alu instid0(VALU_DEP_1)
	v_mov_b64_e32 v[8:9], v[4:5]
.LBB4_23:
	v_dual_mov_b32 v1, 0 :: v_dual_bitop2_b32 v13, 1, v0 bitop3:0x40
	s_mov_b32 s8, exec_lo
	s_delay_alu instid0(VALU_DEP_1)
	v_cmpx_gt_i32_e64 s2, v13
	s_cbranch_execz .LBB4_27
; %bb.24:
	s_xor_b32 s3, s12, s3
	v_dual_mov_b32 v1, 0 :: v_dual_bitop2_b32 v0, 1, v0 bitop3:0x40
	s_and_b32 s3, s3, exec_lo
	s_wait_kmcnt 0x0
	s_cselect_b32 s7, 0, s7
	s_cselect_b32 s6, 1, s6
	s_xor_b32 s3, s13, s10
	v_mul_u64_e32 v[4:5], s[6:7], v[0:1]
	s_and_b32 s3, s3, exec_lo
	s_cselect_b32 s11, s5, 0
	s_cselect_b32 s10, s4, 1
	s_clause 0x1
	s_load_b64 s[4:5], s[0:1], 0x28
	s_load_b64 s[12:13], s[0:1], 0x38
	v_mul_u64_e32 v[14:15], s[10:11], v[0:1]
	v_lshlrev_b64_e32 v[6:7], 1, v[6:7]
	v_lshlrev_b64_e32 v[8:9], 1, v[8:9]
	v_mov_b32_e32 v0, v13
	s_mov_b32 s3, 0
	s_delay_alu instid0(VALU_DEP_3) | instskip(NEXT) | instid1(VALU_DEP_3)
	v_lshl_add_u64 v[4:5], v[4:5], 1, v[6:7]
	v_lshl_add_u64 v[6:7], v[14:15], 1, v[8:9]
	s_wait_kmcnt 0x0
	s_delay_alu instid0(VALU_DEP_2)
	v_add_nc_u64_e32 v[4:5], s[4:5], v[4:5]
	s_lshl_b64 s[4:5], s[6:7], 2
	s_lshl_b64 s[6:7], s[10:11], 2
	v_add_nc_u64_e32 v[6:7], s[12:13], v[6:7]
.LBB4_25:                               ; =>This Inner Loop Header: Depth=1
	global_load_u16 v8, v[4:5], off
	global_load_u16 v9, v[6:7], off
	v_add_nc_u32_e32 v0, 2, v0
	s_wait_xcnt 0x1
	v_add_nc_u64_e32 v[4:5], s[4:5], v[4:5]
	s_wait_xcnt 0x0
	v_add_nc_u64_e32 v[6:7], s[6:7], v[6:7]
	v_cmp_le_i32_e32 vcc_lo, s2, v0
	s_or_b32 s3, vcc_lo, s3
	s_wait_loadcnt 0x0
	v_fmac_f16_e32 v1, v8, v9
	s_and_not1_b32 exec_lo, exec_lo, s3
	s_cbranch_execnz .LBB4_25
; %bb.26:
	s_or_b32 exec_lo, exec_lo, s3
.LBB4_27:
	s_delay_alu instid0(SALU_CYCLE_1) | instskip(SKIP_4) | instid1(VALU_DEP_2)
	s_or_b32 exec_lo, exec_lo, s8
	s_wait_xcnt 0x0
	s_load_b64 s[0:1], s[0:1], 0x50
	v_lshlrev_b32_e32 v0, 2, v12
	v_cmp_eq_u32_e32 vcc_lo, 0, v13
	v_lshl_or_b32 v4, v13, 1, v0
	ds_store_b16 v4, v1
	s_wait_dscnt 0x0
	s_barrier_signal -1
	s_barrier_wait -1
	s_and_saveexec_b32 s2, vcc_lo
	s_cbranch_execz .LBB4_29
; %bb.28:
	ds_load_u16 v1, v0 offset:2
	ds_load_u16 v5, v4
	s_wait_dscnt 0x0
	v_add_f16_e32 v1, v1, v5
	ds_store_b16 v4, v1
.LBB4_29:
	s_or_b32 exec_lo, exec_lo, s2
	s_wait_dscnt 0x0
	s_barrier_signal -1
	s_barrier_wait -1
	s_and_b32 exec_lo, exec_lo, vcc_lo
	s_cbranch_execz .LBB4_31
; %bb.30:
	s_wait_kmcnt 0x0
	v_lshl_add_u64 v[2:3], v[2:3], 1, s[0:1]
	ds_load_u16 v0, v0
	global_load_u16 v1, v[2:3], off
	s_wait_dscnt 0x0
	v_mul_f16_e32 v0, v10, v0
	s_wait_loadcnt 0x0
	s_delay_alu instid0(VALU_DEP_1)
	v_fmac_f16_e32 v0, v11, v1
	global_store_b16 v[2:3], v0, off
.LBB4_31:
	s_endpgm
	.section	.rodata,"a",@progbits
	.p2align	6, 0x0
	.amdhsa_kernel _ZN9rocsparseL16sddmm_ell_kernelILi512ELi2EDF16_iiDF16_DF16_DF16_EEv20rocsparse_operation_S1_16rocsparse_order_S2_T3_S3_S3_T2_NS_24const_host_device_scalarIT1_EEPKT4_lPKT5_lS7_PT6_PKS3_21rocsparse_index_base_b
		.amdhsa_group_segment_fixed_size 1024
		.amdhsa_private_segment_fixed_size 0
		.amdhsa_kernarg_size 104
		.amdhsa_user_sgpr_count 2
		.amdhsa_user_sgpr_dispatch_ptr 0
		.amdhsa_user_sgpr_queue_ptr 0
		.amdhsa_user_sgpr_kernarg_segment_ptr 1
		.amdhsa_user_sgpr_dispatch_id 0
		.amdhsa_user_sgpr_kernarg_preload_length 0
		.amdhsa_user_sgpr_kernarg_preload_offset 0
		.amdhsa_user_sgpr_private_segment_size 0
		.amdhsa_wavefront_size32 1
		.amdhsa_uses_dynamic_stack 0
		.amdhsa_enable_private_segment 0
		.amdhsa_system_sgpr_workgroup_id_x 1
		.amdhsa_system_sgpr_workgroup_id_y 0
		.amdhsa_system_sgpr_workgroup_id_z 0
		.amdhsa_system_sgpr_workgroup_info 0
		.amdhsa_system_vgpr_workitem_id 0
		.amdhsa_next_free_vgpr 16
		.amdhsa_next_free_sgpr 15
		.amdhsa_named_barrier_count 0
		.amdhsa_reserve_vcc 1
		.amdhsa_float_round_mode_32 0
		.amdhsa_float_round_mode_16_64 0
		.amdhsa_float_denorm_mode_32 3
		.amdhsa_float_denorm_mode_16_64 3
		.amdhsa_fp16_overflow 0
		.amdhsa_memory_ordered 1
		.amdhsa_forward_progress 1
		.amdhsa_inst_pref_size 9
		.amdhsa_round_robin_scheduling 0
		.amdhsa_exception_fp_ieee_invalid_op 0
		.amdhsa_exception_fp_denorm_src 0
		.amdhsa_exception_fp_ieee_div_zero 0
		.amdhsa_exception_fp_ieee_overflow 0
		.amdhsa_exception_fp_ieee_underflow 0
		.amdhsa_exception_fp_ieee_inexact 0
		.amdhsa_exception_int_div_zero 0
	.end_amdhsa_kernel
	.section	.text._ZN9rocsparseL16sddmm_ell_kernelILi512ELi2EDF16_iiDF16_DF16_DF16_EEv20rocsparse_operation_S1_16rocsparse_order_S2_T3_S3_S3_T2_NS_24const_host_device_scalarIT1_EEPKT4_lPKT5_lS7_PT6_PKS3_21rocsparse_index_base_b,"axG",@progbits,_ZN9rocsparseL16sddmm_ell_kernelILi512ELi2EDF16_iiDF16_DF16_DF16_EEv20rocsparse_operation_S1_16rocsparse_order_S2_T3_S3_S3_T2_NS_24const_host_device_scalarIT1_EEPKT4_lPKT5_lS7_PT6_PKS3_21rocsparse_index_base_b,comdat
.Lfunc_end4:
	.size	_ZN9rocsparseL16sddmm_ell_kernelILi512ELi2EDF16_iiDF16_DF16_DF16_EEv20rocsparse_operation_S1_16rocsparse_order_S2_T3_S3_S3_T2_NS_24const_host_device_scalarIT1_EEPKT4_lPKT5_lS7_PT6_PKS3_21rocsparse_index_base_b, .Lfunc_end4-_ZN9rocsparseL16sddmm_ell_kernelILi512ELi2EDF16_iiDF16_DF16_DF16_EEv20rocsparse_operation_S1_16rocsparse_order_S2_T3_S3_S3_T2_NS_24const_host_device_scalarIT1_EEPKT4_lPKT5_lS7_PT6_PKS3_21rocsparse_index_base_b
                                        ; -- End function
	.set _ZN9rocsparseL16sddmm_ell_kernelILi512ELi2EDF16_iiDF16_DF16_DF16_EEv20rocsparse_operation_S1_16rocsparse_order_S2_T3_S3_S3_T2_NS_24const_host_device_scalarIT1_EEPKT4_lPKT5_lS7_PT6_PKS3_21rocsparse_index_base_b.num_vgpr, 16
	.set _ZN9rocsparseL16sddmm_ell_kernelILi512ELi2EDF16_iiDF16_DF16_DF16_EEv20rocsparse_operation_S1_16rocsparse_order_S2_T3_S3_S3_T2_NS_24const_host_device_scalarIT1_EEPKT4_lPKT5_lS7_PT6_PKS3_21rocsparse_index_base_b.num_agpr, 0
	.set _ZN9rocsparseL16sddmm_ell_kernelILi512ELi2EDF16_iiDF16_DF16_DF16_EEv20rocsparse_operation_S1_16rocsparse_order_S2_T3_S3_S3_T2_NS_24const_host_device_scalarIT1_EEPKT4_lPKT5_lS7_PT6_PKS3_21rocsparse_index_base_b.numbered_sgpr, 15
	.set _ZN9rocsparseL16sddmm_ell_kernelILi512ELi2EDF16_iiDF16_DF16_DF16_EEv20rocsparse_operation_S1_16rocsparse_order_S2_T3_S3_S3_T2_NS_24const_host_device_scalarIT1_EEPKT4_lPKT5_lS7_PT6_PKS3_21rocsparse_index_base_b.num_named_barrier, 0
	.set _ZN9rocsparseL16sddmm_ell_kernelILi512ELi2EDF16_iiDF16_DF16_DF16_EEv20rocsparse_operation_S1_16rocsparse_order_S2_T3_S3_S3_T2_NS_24const_host_device_scalarIT1_EEPKT4_lPKT5_lS7_PT6_PKS3_21rocsparse_index_base_b.private_seg_size, 0
	.set _ZN9rocsparseL16sddmm_ell_kernelILi512ELi2EDF16_iiDF16_DF16_DF16_EEv20rocsparse_operation_S1_16rocsparse_order_S2_T3_S3_S3_T2_NS_24const_host_device_scalarIT1_EEPKT4_lPKT5_lS7_PT6_PKS3_21rocsparse_index_base_b.uses_vcc, 1
	.set _ZN9rocsparseL16sddmm_ell_kernelILi512ELi2EDF16_iiDF16_DF16_DF16_EEv20rocsparse_operation_S1_16rocsparse_order_S2_T3_S3_S3_T2_NS_24const_host_device_scalarIT1_EEPKT4_lPKT5_lS7_PT6_PKS3_21rocsparse_index_base_b.uses_flat_scratch, 0
	.set _ZN9rocsparseL16sddmm_ell_kernelILi512ELi2EDF16_iiDF16_DF16_DF16_EEv20rocsparse_operation_S1_16rocsparse_order_S2_T3_S3_S3_T2_NS_24const_host_device_scalarIT1_EEPKT4_lPKT5_lS7_PT6_PKS3_21rocsparse_index_base_b.has_dyn_sized_stack, 0
	.set _ZN9rocsparseL16sddmm_ell_kernelILi512ELi2EDF16_iiDF16_DF16_DF16_EEv20rocsparse_operation_S1_16rocsparse_order_S2_T3_S3_S3_T2_NS_24const_host_device_scalarIT1_EEPKT4_lPKT5_lS7_PT6_PKS3_21rocsparse_index_base_b.has_recursion, 0
	.set _ZN9rocsparseL16sddmm_ell_kernelILi512ELi2EDF16_iiDF16_DF16_DF16_EEv20rocsparse_operation_S1_16rocsparse_order_S2_T3_S3_S3_T2_NS_24const_host_device_scalarIT1_EEPKT4_lPKT5_lS7_PT6_PKS3_21rocsparse_index_base_b.has_indirect_call, 0
	.section	.AMDGPU.csdata,"",@progbits
; Kernel info:
; codeLenInByte = 1080
; TotalNumSgprs: 17
; NumVgprs: 16
; ScratchSize: 0
; MemoryBound: 0
; FloatMode: 240
; IeeeMode: 1
; LDSByteSize: 1024 bytes/workgroup (compile time only)
; SGPRBlocks: 0
; VGPRBlocks: 0
; NumSGPRsForWavesPerEU: 17
; NumVGPRsForWavesPerEU: 16
; NamedBarCnt: 0
; Occupancy: 16
; WaveLimiterHint : 0
; COMPUTE_PGM_RSRC2:SCRATCH_EN: 0
; COMPUTE_PGM_RSRC2:USER_SGPR: 2
; COMPUTE_PGM_RSRC2:TRAP_HANDLER: 0
; COMPUTE_PGM_RSRC2:TGID_X_EN: 1
; COMPUTE_PGM_RSRC2:TGID_Y_EN: 0
; COMPUTE_PGM_RSRC2:TGID_Z_EN: 0
; COMPUTE_PGM_RSRC2:TIDIG_COMP_CNT: 0
	.section	.text._ZN9rocsparseL16sddmm_ell_kernelILi512ELi1EDF16_iiDF16_DF16_DF16_EEv20rocsparse_operation_S1_16rocsparse_order_S2_T3_S3_S3_T2_NS_24const_host_device_scalarIT1_EEPKT4_lPKT5_lS7_PT6_PKS3_21rocsparse_index_base_b,"axG",@progbits,_ZN9rocsparseL16sddmm_ell_kernelILi512ELi1EDF16_iiDF16_DF16_DF16_EEv20rocsparse_operation_S1_16rocsparse_order_S2_T3_S3_S3_T2_NS_24const_host_device_scalarIT1_EEPKT4_lPKT5_lS7_PT6_PKS3_21rocsparse_index_base_b,comdat
	.globl	_ZN9rocsparseL16sddmm_ell_kernelILi512ELi1EDF16_iiDF16_DF16_DF16_EEv20rocsparse_operation_S1_16rocsparse_order_S2_T3_S3_S3_T2_NS_24const_host_device_scalarIT1_EEPKT4_lPKT5_lS7_PT6_PKS3_21rocsparse_index_base_b ; -- Begin function _ZN9rocsparseL16sddmm_ell_kernelILi512ELi1EDF16_iiDF16_DF16_DF16_EEv20rocsparse_operation_S1_16rocsparse_order_S2_T3_S3_S3_T2_NS_24const_host_device_scalarIT1_EEPKT4_lPKT5_lS7_PT6_PKS3_21rocsparse_index_base_b
	.p2align	8
	.type	_ZN9rocsparseL16sddmm_ell_kernelILi512ELi1EDF16_iiDF16_DF16_DF16_EEv20rocsparse_operation_S1_16rocsparse_order_S2_T3_S3_S3_T2_NS_24const_host_device_scalarIT1_EEPKT4_lPKT5_lS7_PT6_PKS3_21rocsparse_index_base_b,@function
_ZN9rocsparseL16sddmm_ell_kernelILi512ELi1EDF16_iiDF16_DF16_DF16_EEv20rocsparse_operation_S1_16rocsparse_order_S2_T3_S3_S3_T2_NS_24const_host_device_scalarIT1_EEPKT4_lPKT5_lS7_PT6_PKS3_21rocsparse_index_base_b: ; @_ZN9rocsparseL16sddmm_ell_kernelILi512ELi1EDF16_iiDF16_DF16_DF16_EEv20rocsparse_operation_S1_16rocsparse_order_S2_T3_S3_S3_T2_NS_24const_host_device_scalarIT1_EEPKT4_lPKT5_lS7_PT6_PKS3_21rocsparse_index_base_b
; %bb.0:
	s_clause 0x2
	s_load_b64 s[8:9], s[0:1], 0x60
	s_load_b64 s[2:3], s[0:1], 0x20
	s_load_b128 s[4:7], s[0:1], 0x40
	s_wait_kmcnt 0x0
	s_bitcmp1_b32 s9, 0
	v_mov_b32_e32 v1, s2
	s_cselect_b32 s9, -1, 0
	s_delay_alu instid0(SALU_CYCLE_1)
	s_and_b32 vcc_lo, exec_lo, s9
	s_xor_b32 s9, s9, -1
	s_cbranch_vccnz .LBB5_2
; %bb.1:
	v_mov_b32_e32 v1, 0
	global_load_u16 v1, v1, s[2:3]
.LBB5_2:
	v_mov_b32_e32 v10, s6
	s_and_not1_b32 vcc_lo, exec_lo, s9
	s_cbranch_vccnz .LBB5_4
; %bb.3:
	v_mov_b32_e32 v2, 0
	global_load_u16 v10, v2, s[6:7]
.LBB5_4:
	s_wait_loadcnt 0x0
	v_cmp_eq_f16_e32 vcc_lo, 0, v1
	v_cmp_eq_f16_e64 s2, 1.0, v10
	s_and_b32 s2, vcc_lo, s2
	s_delay_alu instid0(SALU_CYCLE_1)
	s_and_b32 vcc_lo, exec_lo, s2
	s_cbranch_vccnz .LBB5_28
; %bb.5:
	s_load_b64 s[2:3], s[0:1], 0x18
	s_bfe_u32 s6, ttmp6, 0x4000c
	s_and_b32 s7, ttmp6, 15
	s_add_co_i32 s6, s6, 1
	s_getreg_b32 s9, hwreg(HW_REG_IB_STS2, 6, 4)
	s_mul_i32 s6, ttmp9, s6
	s_delay_alu instid0(SALU_CYCLE_1) | instskip(SKIP_2) | instid1(SALU_CYCLE_1)
	s_add_co_i32 s7, s7, s6
	s_cmp_eq_u32 s9, 0
	s_cselect_b32 s6, ttmp9, s7
	v_lshl_or_b32 v2, s6, 9, v0
	s_wait_kmcnt 0x0
	s_delay_alu instid0(VALU_DEP_1)
	v_cmp_gt_i32_e32 vcc_lo, s3, v2
	s_and_saveexec_b32 s3, vcc_lo
	s_cbranch_execz .LBB5_28
; %bb.6:
	s_load_b64 s[6:7], s[0:1], 0x58
	s_mov_b32 s13, -1
	s_wait_kmcnt 0x0
	global_load_b32 v3, v2, s[6:7] scale_offset
	s_wait_loadcnt 0x0
	v_subrev_nc_u32_e32 v4, s8, v3
	s_delay_alu instid0(VALU_DEP_1)
	v_cmp_lt_i32_e32 vcc_lo, -1, v4
	s_and_b32 exec_lo, exec_lo, vcc_lo
	s_cbranch_execz .LBB5_28
; %bb.7:
	s_clause 0x1
	s_load_b128 s[8:11], s[0:1], 0x0
	s_load_b32 s6, s[0:1], 0x10
	s_wait_kmcnt 0x0
	s_cmp_eq_u32 s10, 1
	s_cselect_b32 s3, -1, 0
	s_cmp_eq_u32 s8, 0x6f
	s_cselect_b32 s12, -1, 0
	s_cmp_lg_u32 s8, 0x6f
	s_cselect_b32 s8, -1, 0
	s_abs_i32 s14, s6
	s_delay_alu instid0(SALU_CYCLE_1) | instskip(SKIP_1) | instid1(SALU_CYCLE_2)
	s_cvt_f32_u32 s6, s14
	s_sub_co_i32 s7, 0, s14
	v_rcp_iflag_f32_e32 v3, s6
	v_nop
	s_delay_alu instid0(TRANS32_DEP_1) | instskip(SKIP_2) | instid1(VALU_DEP_1)
	v_readfirstlane_b32 s6, v3
	v_sub_nc_u32_e32 v3, 0, v2
	s_mul_f32 s6, s6, 0x4f7ffffe
	v_max_i32_e32 v3, v2, v3
	s_delay_alu instid0(SALU_CYCLE_2) | instskip(NEXT) | instid1(SALU_CYCLE_3)
	s_cvt_u32_f32 s6, s6
	s_mul_i32 s7, s7, s6
	s_delay_alu instid0(SALU_CYCLE_1) | instskip(NEXT) | instid1(SALU_CYCLE_1)
	s_mul_hi_u32 s7, s6, s7
	s_add_co_i32 s6, s6, s7
	s_cmp_lg_u32 s10, 1
	v_mul_hi_u32 v5, v3, s6
	s_load_b64 s[6:7], s[0:1], 0x30
	s_delay_alu instid0(VALU_DEP_1) | instskip(NEXT) | instid1(VALU_DEP_1)
	v_mul_lo_u32 v5, v5, s14
	v_sub_nc_u32_e32 v3, v3, v5
	s_delay_alu instid0(VALU_DEP_1) | instskip(SKIP_1) | instid1(VALU_DEP_2)
	v_subrev_nc_u32_e32 v5, s14, v3
	v_cmp_le_u32_e32 vcc_lo, s14, v3
	v_dual_cndmask_b32 v5, v3, v5, vcc_lo :: v_dual_ashrrev_i32 v3, 31, v2
	s_delay_alu instid0(VALU_DEP_1) | instskip(SKIP_1) | instid1(VALU_DEP_2)
	v_subrev_nc_u32_e32 v6, s14, v5
	v_cmp_le_u32_e32 vcc_lo, s14, v5
	v_cndmask_b32_e32 v5, v5, v6, vcc_lo
                                        ; implicit-def: $vgpr6_vgpr7
	s_delay_alu instid0(VALU_DEP_1) | instskip(NEXT) | instid1(VALU_DEP_1)
	v_xor_b32_e32 v5, v5, v3
	v_sub_nc_u32_e32 v8, v5, v3
	s_delay_alu instid0(VALU_DEP_1)
	v_ashrrev_i32_e32 v9, 31, v8
	s_cbranch_scc0 .LBB5_11
; %bb.8:
	s_delay_alu instid0(VALU_DEP_1)
	v_mov_b64_e32 v[6:7], v[8:9]
	s_and_not1_b32 vcc_lo, exec_lo, s12
	s_cbranch_vccnz .LBB5_10
; %bb.9:
	s_wait_kmcnt 0x0
	v_mul_u64_e32 v[6:7], s[6:7], v[8:9]
.LBB5_10:
	s_mov_b32 s13, 0
.LBB5_11:
	s_delay_alu instid0(SALU_CYCLE_1)
	s_and_not1_b32 vcc_lo, exec_lo, s13
	s_cbranch_vccnz .LBB5_15
; %bb.12:
	s_and_not1_b32 vcc_lo, exec_lo, s8
	s_cbranch_vccnz .LBB5_14
; %bb.13:
	s_wait_kmcnt 0x0
	v_mul_u64_e32 v[8:9], s[6:7], v[8:9]
.LBB5_14:
	s_delay_alu instid0(VALU_DEP_1)
	v_mov_b64_e32 v[6:7], v[8:9]
.LBB5_15:
	s_cmp_eq_u32 s11, 1
	v_mov_b32_e32 v5, 0
	s_cselect_b32 s8, -1, 0
	s_cmp_eq_u32 s9, 0x6f
	s_cselect_b32 s10, -1, 0
	s_cmp_lg_u32 s9, 0x6f
	s_cselect_b32 s9, -1, 0
	s_cmp_lg_u32 s11, 1
	s_cbranch_scc0 .LBB5_19
; %bb.16:
	v_mov_b64_e32 v[8:9], v[4:5]
	s_and_not1_b32 vcc_lo, exec_lo, s9
	s_cbranch_vccnz .LBB5_18
; %bb.17:
	v_mul_u64_e32 v[8:9], s[4:5], v[4:5]
.LBB5_18:
	s_cbranch_execz .LBB5_20
	s_branch .LBB5_23
.LBB5_19:
                                        ; implicit-def: $vgpr8_vgpr9
.LBB5_20:
	s_and_not1_b32 vcc_lo, exec_lo, s10
	s_cbranch_vccnz .LBB5_22
; %bb.21:
	v_mul_u64_e32 v[4:5], s[4:5], v[4:5]
.LBB5_22:
	s_delay_alu instid0(VALU_DEP_1)
	v_mov_b64_e32 v[8:9], v[4:5]
.LBB5_23:
	s_cmp_lt_i32 s2, 1
	s_cbranch_scc1 .LBB5_26
; %bb.24:
	s_clause 0x1
	s_load_b64 s[14:15], s[0:1], 0x38
	s_load_b64 s[16:17], s[0:1], 0x28
	s_xor_b32 s3, s12, s3
	s_delay_alu instid0(SALU_CYCLE_1) | instskip(SKIP_4) | instid1(SALU_CYCLE_1)
	s_and_b32 s3, s3, exec_lo
	s_wait_kmcnt 0x0
	s_cselect_b32 s7, 0, s7
	s_cselect_b32 s6, 1, s6
	s_xor_b32 s3, s10, s8
	s_and_b32 s3, s3, exec_lo
	s_cselect_b32 s9, s5, 0
	s_cselect_b32 s8, s4, 1
	s_lshl_b64 s[4:5], s[6:7], 1
	s_lshl_b64 s[6:7], s[8:9], 1
	s_delay_alu instid0(VALU_DEP_1)
	v_lshl_add_u64 v[4:5], v[8:9], 1, s[14:15]
	v_lshl_add_u64 v[6:7], v[6:7], 1, s[16:17]
	v_mov_b32_e32 v8, 0
.LBB5_25:                               ; =>This Inner Loop Header: Depth=1
	global_load_u16 v9, v[6:7], off
	global_load_u16 v11, v[4:5], off
	s_wait_xcnt 0x1
	v_add_nc_u64_e32 v[6:7], s[4:5], v[6:7]
	s_wait_xcnt 0x0
	v_add_nc_u64_e32 v[4:5], s[6:7], v[4:5]
	s_add_co_i32 s2, s2, -1
	s_delay_alu instid0(SALU_CYCLE_1)
	s_cmp_eq_u32 s2, 0
	s_wait_loadcnt 0x0
	v_fmac_f16_e32 v8, v9, v11
	s_cbranch_scc0 .LBB5_25
	s_branch .LBB5_27
.LBB5_26:
	v_mov_b32_e32 v8, 0
.LBB5_27:
	s_wait_xcnt 0x0
	s_load_b64 s[0:1], s[0:1], 0x50
	v_lshlrev_b32_e32 v0, 1, v0
	ds_store_b16 v0, v8
	s_wait_dscnt 0x0
	s_barrier_signal -1
	s_barrier_wait -1
	ds_load_u16 v0, v0
	s_wait_kmcnt 0x0
	v_lshl_add_u64 v[2:3], v[2:3], 1, s[0:1]
	global_load_u16 v4, v[2:3], off
	s_wait_dscnt 0x0
	v_mul_f16_e32 v0, v1, v0
	s_wait_loadcnt 0x0
	s_delay_alu instid0(VALU_DEP_1)
	v_fmac_f16_e32 v0, v10, v4
	global_store_b16 v[2:3], v0, off
.LBB5_28:
	s_endpgm
	.section	.rodata,"a",@progbits
	.p2align	6, 0x0
	.amdhsa_kernel _ZN9rocsparseL16sddmm_ell_kernelILi512ELi1EDF16_iiDF16_DF16_DF16_EEv20rocsparse_operation_S1_16rocsparse_order_S2_T3_S3_S3_T2_NS_24const_host_device_scalarIT1_EEPKT4_lPKT5_lS7_PT6_PKS3_21rocsparse_index_base_b
		.amdhsa_group_segment_fixed_size 1024
		.amdhsa_private_segment_fixed_size 0
		.amdhsa_kernarg_size 104
		.amdhsa_user_sgpr_count 2
		.amdhsa_user_sgpr_dispatch_ptr 0
		.amdhsa_user_sgpr_queue_ptr 0
		.amdhsa_user_sgpr_kernarg_segment_ptr 1
		.amdhsa_user_sgpr_dispatch_id 0
		.amdhsa_user_sgpr_kernarg_preload_length 0
		.amdhsa_user_sgpr_kernarg_preload_offset 0
		.amdhsa_user_sgpr_private_segment_size 0
		.amdhsa_wavefront_size32 1
		.amdhsa_uses_dynamic_stack 0
		.amdhsa_enable_private_segment 0
		.amdhsa_system_sgpr_workgroup_id_x 1
		.amdhsa_system_sgpr_workgroup_id_y 0
		.amdhsa_system_sgpr_workgroup_id_z 0
		.amdhsa_system_sgpr_workgroup_info 0
		.amdhsa_system_vgpr_workitem_id 0
		.amdhsa_next_free_vgpr 12
		.amdhsa_next_free_sgpr 18
		.amdhsa_named_barrier_count 0
		.amdhsa_reserve_vcc 1
		.amdhsa_float_round_mode_32 0
		.amdhsa_float_round_mode_16_64 0
		.amdhsa_float_denorm_mode_32 3
		.amdhsa_float_denorm_mode_16_64 3
		.amdhsa_fp16_overflow 0
		.amdhsa_memory_ordered 1
		.amdhsa_forward_progress 1
		.amdhsa_inst_pref_size 8
		.amdhsa_round_robin_scheduling 0
		.amdhsa_exception_fp_ieee_invalid_op 0
		.amdhsa_exception_fp_denorm_src 0
		.amdhsa_exception_fp_ieee_div_zero 0
		.amdhsa_exception_fp_ieee_overflow 0
		.amdhsa_exception_fp_ieee_underflow 0
		.amdhsa_exception_fp_ieee_inexact 0
		.amdhsa_exception_int_div_zero 0
	.end_amdhsa_kernel
	.section	.text._ZN9rocsparseL16sddmm_ell_kernelILi512ELi1EDF16_iiDF16_DF16_DF16_EEv20rocsparse_operation_S1_16rocsparse_order_S2_T3_S3_S3_T2_NS_24const_host_device_scalarIT1_EEPKT4_lPKT5_lS7_PT6_PKS3_21rocsparse_index_base_b,"axG",@progbits,_ZN9rocsparseL16sddmm_ell_kernelILi512ELi1EDF16_iiDF16_DF16_DF16_EEv20rocsparse_operation_S1_16rocsparse_order_S2_T3_S3_S3_T2_NS_24const_host_device_scalarIT1_EEPKT4_lPKT5_lS7_PT6_PKS3_21rocsparse_index_base_b,comdat
.Lfunc_end5:
	.size	_ZN9rocsparseL16sddmm_ell_kernelILi512ELi1EDF16_iiDF16_DF16_DF16_EEv20rocsparse_operation_S1_16rocsparse_order_S2_T3_S3_S3_T2_NS_24const_host_device_scalarIT1_EEPKT4_lPKT5_lS7_PT6_PKS3_21rocsparse_index_base_b, .Lfunc_end5-_ZN9rocsparseL16sddmm_ell_kernelILi512ELi1EDF16_iiDF16_DF16_DF16_EEv20rocsparse_operation_S1_16rocsparse_order_S2_T3_S3_S3_T2_NS_24const_host_device_scalarIT1_EEPKT4_lPKT5_lS7_PT6_PKS3_21rocsparse_index_base_b
                                        ; -- End function
	.set _ZN9rocsparseL16sddmm_ell_kernelILi512ELi1EDF16_iiDF16_DF16_DF16_EEv20rocsparse_operation_S1_16rocsparse_order_S2_T3_S3_S3_T2_NS_24const_host_device_scalarIT1_EEPKT4_lPKT5_lS7_PT6_PKS3_21rocsparse_index_base_b.num_vgpr, 12
	.set _ZN9rocsparseL16sddmm_ell_kernelILi512ELi1EDF16_iiDF16_DF16_DF16_EEv20rocsparse_operation_S1_16rocsparse_order_S2_T3_S3_S3_T2_NS_24const_host_device_scalarIT1_EEPKT4_lPKT5_lS7_PT6_PKS3_21rocsparse_index_base_b.num_agpr, 0
	.set _ZN9rocsparseL16sddmm_ell_kernelILi512ELi1EDF16_iiDF16_DF16_DF16_EEv20rocsparse_operation_S1_16rocsparse_order_S2_T3_S3_S3_T2_NS_24const_host_device_scalarIT1_EEPKT4_lPKT5_lS7_PT6_PKS3_21rocsparse_index_base_b.numbered_sgpr, 18
	.set _ZN9rocsparseL16sddmm_ell_kernelILi512ELi1EDF16_iiDF16_DF16_DF16_EEv20rocsparse_operation_S1_16rocsparse_order_S2_T3_S3_S3_T2_NS_24const_host_device_scalarIT1_EEPKT4_lPKT5_lS7_PT6_PKS3_21rocsparse_index_base_b.num_named_barrier, 0
	.set _ZN9rocsparseL16sddmm_ell_kernelILi512ELi1EDF16_iiDF16_DF16_DF16_EEv20rocsparse_operation_S1_16rocsparse_order_S2_T3_S3_S3_T2_NS_24const_host_device_scalarIT1_EEPKT4_lPKT5_lS7_PT6_PKS3_21rocsparse_index_base_b.private_seg_size, 0
	.set _ZN9rocsparseL16sddmm_ell_kernelILi512ELi1EDF16_iiDF16_DF16_DF16_EEv20rocsparse_operation_S1_16rocsparse_order_S2_T3_S3_S3_T2_NS_24const_host_device_scalarIT1_EEPKT4_lPKT5_lS7_PT6_PKS3_21rocsparse_index_base_b.uses_vcc, 1
	.set _ZN9rocsparseL16sddmm_ell_kernelILi512ELi1EDF16_iiDF16_DF16_DF16_EEv20rocsparse_operation_S1_16rocsparse_order_S2_T3_S3_S3_T2_NS_24const_host_device_scalarIT1_EEPKT4_lPKT5_lS7_PT6_PKS3_21rocsparse_index_base_b.uses_flat_scratch, 0
	.set _ZN9rocsparseL16sddmm_ell_kernelILi512ELi1EDF16_iiDF16_DF16_DF16_EEv20rocsparse_operation_S1_16rocsparse_order_S2_T3_S3_S3_T2_NS_24const_host_device_scalarIT1_EEPKT4_lPKT5_lS7_PT6_PKS3_21rocsparse_index_base_b.has_dyn_sized_stack, 0
	.set _ZN9rocsparseL16sddmm_ell_kernelILi512ELi1EDF16_iiDF16_DF16_DF16_EEv20rocsparse_operation_S1_16rocsparse_order_S2_T3_S3_S3_T2_NS_24const_host_device_scalarIT1_EEPKT4_lPKT5_lS7_PT6_PKS3_21rocsparse_index_base_b.has_recursion, 0
	.set _ZN9rocsparseL16sddmm_ell_kernelILi512ELi1EDF16_iiDF16_DF16_DF16_EEv20rocsparse_operation_S1_16rocsparse_order_S2_T3_S3_S3_T2_NS_24const_host_device_scalarIT1_EEPKT4_lPKT5_lS7_PT6_PKS3_21rocsparse_index_base_b.has_indirect_call, 0
	.section	.AMDGPU.csdata,"",@progbits
; Kernel info:
; codeLenInByte = 920
; TotalNumSgprs: 20
; NumVgprs: 12
; ScratchSize: 0
; MemoryBound: 0
; FloatMode: 240
; IeeeMode: 1
; LDSByteSize: 1024 bytes/workgroup (compile time only)
; SGPRBlocks: 0
; VGPRBlocks: 0
; NumSGPRsForWavesPerEU: 20
; NumVGPRsForWavesPerEU: 12
; NamedBarCnt: 0
; Occupancy: 16
; WaveLimiterHint : 0
; COMPUTE_PGM_RSRC2:SCRATCH_EN: 0
; COMPUTE_PGM_RSRC2:USER_SGPR: 2
; COMPUTE_PGM_RSRC2:TRAP_HANDLER: 0
; COMPUTE_PGM_RSRC2:TGID_X_EN: 1
; COMPUTE_PGM_RSRC2:TGID_Y_EN: 0
; COMPUTE_PGM_RSRC2:TGID_Z_EN: 0
; COMPUTE_PGM_RSRC2:TIDIG_COMP_CNT: 0
	.section	.text._ZN9rocsparseL23sddmm_ell_sample_kernelILi16ELi32EfifEEvT2_S1_PKT3_lS1_PS2_PKS1_21rocsparse_index_base_,"axG",@progbits,_ZN9rocsparseL23sddmm_ell_sample_kernelILi16ELi32EfifEEvT2_S1_PKT3_lS1_PS2_PKS1_21rocsparse_index_base_,comdat
	.globl	_ZN9rocsparseL23sddmm_ell_sample_kernelILi16ELi32EfifEEvT2_S1_PKT3_lS1_PS2_PKS1_21rocsparse_index_base_ ; -- Begin function _ZN9rocsparseL23sddmm_ell_sample_kernelILi16ELi32EfifEEvT2_S1_PKT3_lS1_PS2_PKS1_21rocsparse_index_base_
	.p2align	8
	.type	_ZN9rocsparseL23sddmm_ell_sample_kernelILi16ELi32EfifEEvT2_S1_PKT3_lS1_PS2_PKS1_21rocsparse_index_base_,@function
_ZN9rocsparseL23sddmm_ell_sample_kernelILi16ELi32EfifEEvT2_S1_PKT3_lS1_PS2_PKS1_21rocsparse_index_base_: ; @_ZN9rocsparseL23sddmm_ell_sample_kernelILi16ELi32EfifEEvT2_S1_PKT3_lS1_PS2_PKS1_21rocsparse_index_base_
; %bb.0:
	s_load_b32 s2, s[0:1], 0x18
	s_bfe_u32 s3, ttmp6, 0x4000c
	s_and_b32 s4, ttmp6, 15
	s_add_co_i32 s3, s3, 1
	s_getreg_b32 s5, hwreg(HW_REG_IB_STS2, 6, 4)
	s_mul_i32 s3, ttmp9, s3
	v_lshrrev_b32_e32 v1, 5, v0
	s_add_co_i32 s4, s4, s3
	s_cmp_eq_u32 s5, 0
	s_cselect_b32 s3, ttmp9, s4
	s_delay_alu instid0(VALU_DEP_1) | instid1(SALU_CYCLE_1)
	v_lshl_or_b32 v2, s3, 4, v1
	s_wait_kmcnt 0x0
	s_delay_alu instid0(VALU_DEP_1)
	v_cmp_gt_u32_e32 vcc_lo, s2, v2
	s_and_saveexec_b32 s2, vcc_lo
	s_cbranch_execz .LBB6_6
; %bb.1:
	s_load_b64 s[2:3], s[0:1], 0x0
	v_and_b32_e32 v4, 31, v0
	s_wait_kmcnt 0x0
	s_delay_alu instid0(VALU_DEP_1)
	v_cmp_gt_i32_e32 vcc_lo, s2, v4
	s_and_b32 exec_lo, exec_lo, vcc_lo
	s_cbranch_execz .LBB6_6
; %bb.2:
	s_clause 0x2
	s_load_b128 s[12:15], s[0:1], 0x8
	s_load_b128 s[4:7], s[0:1], 0x20
	s_load_b32 s10, s[0:1], 0x30
	v_dual_mov_b32 v1, 0 :: v_dual_bitop2_b32 v0, 31, v0 bitop3:0x40
	v_mul_lo_u32 v5, v2, s2
	s_wait_xcnt 0x0
	s_mov_b32 s1, 0
	s_delay_alu instid0(VALU_DEP_2) | instskip(SKIP_1) | instid1(VALU_DEP_1)
	v_lshlrev_b32_e32 v0, 2, v0
	s_wait_kmcnt 0x0
	v_add_nc_u64_e32 v[2:3], s[12:13], v[0:1]
	s_lshl_b64 s[8:9], s[14:15], 2
	s_branch .LBB6_4
.LBB6_3:                                ;   in Loop: Header=BB6_4 Depth=1
	s_wait_xcnt 0x0
	s_or_b32 exec_lo, exec_lo, s0
	v_add_nc_u32_e32 v4, 32, v4
	v_add_nc_u64_e32 v[2:3], 0x80, v[2:3]
	s_delay_alu instid0(VALU_DEP_2) | instskip(SKIP_1) | instid1(SALU_CYCLE_1)
	v_cmp_le_i32_e32 vcc_lo, s2, v4
	s_or_b32 s1, vcc_lo, s1
	s_and_not1_b32 exec_lo, exec_lo, s1
	s_cbranch_execz .LBB6_6
.LBB6_4:                                ; =>This Inner Loop Header: Depth=1
	s_delay_alu instid0(VALU_DEP_3) | instskip(SKIP_3) | instid1(VALU_DEP_1)
	v_add_nc_u32_e32 v0, v5, v4
	global_load_b32 v6, v0, s[6:7] scale_offset
	s_wait_loadcnt 0x0
	v_subrev_nc_u32_e32 v6, s10, v6
	v_cmp_lt_i32_e32 vcc_lo, -1, v6
	v_cmp_gt_i32_e64 s0, s3, v6
	s_and_b32 s11, vcc_lo, s0
	s_wait_xcnt 0x0
	s_and_saveexec_b32 s0, s11
	s_cbranch_execz .LBB6_3
; %bb.5:                                ;   in Loop: Header=BB6_4 Depth=1
	v_mad_nc_u64_u32 v[8:9], s8, v6, v[2:3]
	s_delay_alu instid0(VALU_DEP_1)
	v_mad_u32 v9, s9, v6, v9
	v_lshl_add_u64 v[6:7], v[0:1], 2, s[4:5]
	global_load_b32 v8, v[8:9], off
	s_wait_loadcnt 0x0
	global_store_b32 v[6:7], v8, off
	s_branch .LBB6_3
.LBB6_6:
	s_endpgm
	.section	.rodata,"a",@progbits
	.p2align	6, 0x0
	.amdhsa_kernel _ZN9rocsparseL23sddmm_ell_sample_kernelILi16ELi32EfifEEvT2_S1_PKT3_lS1_PS2_PKS1_21rocsparse_index_base_
		.amdhsa_group_segment_fixed_size 0
		.amdhsa_private_segment_fixed_size 0
		.amdhsa_kernarg_size 52
		.amdhsa_user_sgpr_count 2
		.amdhsa_user_sgpr_dispatch_ptr 0
		.amdhsa_user_sgpr_queue_ptr 0
		.amdhsa_user_sgpr_kernarg_segment_ptr 1
		.amdhsa_user_sgpr_dispatch_id 0
		.amdhsa_user_sgpr_kernarg_preload_length 0
		.amdhsa_user_sgpr_kernarg_preload_offset 0
		.amdhsa_user_sgpr_private_segment_size 0
		.amdhsa_wavefront_size32 1
		.amdhsa_uses_dynamic_stack 0
		.amdhsa_enable_private_segment 0
		.amdhsa_system_sgpr_workgroup_id_x 1
		.amdhsa_system_sgpr_workgroup_id_y 0
		.amdhsa_system_sgpr_workgroup_id_z 0
		.amdhsa_system_sgpr_workgroup_info 0
		.amdhsa_system_vgpr_workitem_id 0
		.amdhsa_next_free_vgpr 10
		.amdhsa_next_free_sgpr 16
		.amdhsa_named_barrier_count 0
		.amdhsa_reserve_vcc 1
		.amdhsa_float_round_mode_32 0
		.amdhsa_float_round_mode_16_64 0
		.amdhsa_float_denorm_mode_32 3
		.amdhsa_float_denorm_mode_16_64 3
		.amdhsa_fp16_overflow 0
		.amdhsa_memory_ordered 1
		.amdhsa_forward_progress 1
		.amdhsa_inst_pref_size 3
		.amdhsa_round_robin_scheduling 0
		.amdhsa_exception_fp_ieee_invalid_op 0
		.amdhsa_exception_fp_denorm_src 0
		.amdhsa_exception_fp_ieee_div_zero 0
		.amdhsa_exception_fp_ieee_overflow 0
		.amdhsa_exception_fp_ieee_underflow 0
		.amdhsa_exception_fp_ieee_inexact 0
		.amdhsa_exception_int_div_zero 0
	.end_amdhsa_kernel
	.section	.text._ZN9rocsparseL23sddmm_ell_sample_kernelILi16ELi32EfifEEvT2_S1_PKT3_lS1_PS2_PKS1_21rocsparse_index_base_,"axG",@progbits,_ZN9rocsparseL23sddmm_ell_sample_kernelILi16ELi32EfifEEvT2_S1_PKT3_lS1_PS2_PKS1_21rocsparse_index_base_,comdat
.Lfunc_end6:
	.size	_ZN9rocsparseL23sddmm_ell_sample_kernelILi16ELi32EfifEEvT2_S1_PKT3_lS1_PS2_PKS1_21rocsparse_index_base_, .Lfunc_end6-_ZN9rocsparseL23sddmm_ell_sample_kernelILi16ELi32EfifEEvT2_S1_PKT3_lS1_PS2_PKS1_21rocsparse_index_base_
                                        ; -- End function
	.set _ZN9rocsparseL23sddmm_ell_sample_kernelILi16ELi32EfifEEvT2_S1_PKT3_lS1_PS2_PKS1_21rocsparse_index_base_.num_vgpr, 10
	.set _ZN9rocsparseL23sddmm_ell_sample_kernelILi16ELi32EfifEEvT2_S1_PKT3_lS1_PS2_PKS1_21rocsparse_index_base_.num_agpr, 0
	.set _ZN9rocsparseL23sddmm_ell_sample_kernelILi16ELi32EfifEEvT2_S1_PKT3_lS1_PS2_PKS1_21rocsparse_index_base_.numbered_sgpr, 16
	.set _ZN9rocsparseL23sddmm_ell_sample_kernelILi16ELi32EfifEEvT2_S1_PKT3_lS1_PS2_PKS1_21rocsparse_index_base_.num_named_barrier, 0
	.set _ZN9rocsparseL23sddmm_ell_sample_kernelILi16ELi32EfifEEvT2_S1_PKT3_lS1_PS2_PKS1_21rocsparse_index_base_.private_seg_size, 0
	.set _ZN9rocsparseL23sddmm_ell_sample_kernelILi16ELi32EfifEEvT2_S1_PKT3_lS1_PS2_PKS1_21rocsparse_index_base_.uses_vcc, 1
	.set _ZN9rocsparseL23sddmm_ell_sample_kernelILi16ELi32EfifEEvT2_S1_PKT3_lS1_PS2_PKS1_21rocsparse_index_base_.uses_flat_scratch, 0
	.set _ZN9rocsparseL23sddmm_ell_sample_kernelILi16ELi32EfifEEvT2_S1_PKT3_lS1_PS2_PKS1_21rocsparse_index_base_.has_dyn_sized_stack, 0
	.set _ZN9rocsparseL23sddmm_ell_sample_kernelILi16ELi32EfifEEvT2_S1_PKT3_lS1_PS2_PKS1_21rocsparse_index_base_.has_recursion, 0
	.set _ZN9rocsparseL23sddmm_ell_sample_kernelILi16ELi32EfifEEvT2_S1_PKT3_lS1_PS2_PKS1_21rocsparse_index_base_.has_indirect_call, 0
	.section	.AMDGPU.csdata,"",@progbits
; Kernel info:
; codeLenInByte = 352
; TotalNumSgprs: 18
; NumVgprs: 10
; ScratchSize: 0
; MemoryBound: 0
; FloatMode: 240
; IeeeMode: 1
; LDSByteSize: 0 bytes/workgroup (compile time only)
; SGPRBlocks: 0
; VGPRBlocks: 0
; NumSGPRsForWavesPerEU: 18
; NumVGPRsForWavesPerEU: 10
; NamedBarCnt: 0
; Occupancy: 16
; WaveLimiterHint : 1
; COMPUTE_PGM_RSRC2:SCRATCH_EN: 0
; COMPUTE_PGM_RSRC2:USER_SGPR: 2
; COMPUTE_PGM_RSRC2:TRAP_HANDLER: 0
; COMPUTE_PGM_RSRC2:TGID_X_EN: 1
; COMPUTE_PGM_RSRC2:TGID_Y_EN: 0
; COMPUTE_PGM_RSRC2:TGID_Z_EN: 0
; COMPUTE_PGM_RSRC2:TIDIG_COMP_CNT: 0
	.section	.text._ZN9rocsparseL23sddmm_ell_sample_kernelILi16ELi64EfifEEvT2_S1_PKT3_lS1_PS2_PKS1_21rocsparse_index_base_,"axG",@progbits,_ZN9rocsparseL23sddmm_ell_sample_kernelILi16ELi64EfifEEvT2_S1_PKT3_lS1_PS2_PKS1_21rocsparse_index_base_,comdat
	.globl	_ZN9rocsparseL23sddmm_ell_sample_kernelILi16ELi64EfifEEvT2_S1_PKT3_lS1_PS2_PKS1_21rocsparse_index_base_ ; -- Begin function _ZN9rocsparseL23sddmm_ell_sample_kernelILi16ELi64EfifEEvT2_S1_PKT3_lS1_PS2_PKS1_21rocsparse_index_base_
	.p2align	8
	.type	_ZN9rocsparseL23sddmm_ell_sample_kernelILi16ELi64EfifEEvT2_S1_PKT3_lS1_PS2_PKS1_21rocsparse_index_base_,@function
_ZN9rocsparseL23sddmm_ell_sample_kernelILi16ELi64EfifEEvT2_S1_PKT3_lS1_PS2_PKS1_21rocsparse_index_base_: ; @_ZN9rocsparseL23sddmm_ell_sample_kernelILi16ELi64EfifEEvT2_S1_PKT3_lS1_PS2_PKS1_21rocsparse_index_base_
; %bb.0:
	s_load_b32 s2, s[0:1], 0x18
	s_bfe_u32 s3, ttmp6, 0x4000c
	s_and_b32 s4, ttmp6, 15
	s_add_co_i32 s3, s3, 1
	s_getreg_b32 s5, hwreg(HW_REG_IB_STS2, 6, 4)
	s_mul_i32 s3, ttmp9, s3
	v_lshrrev_b32_e32 v1, 6, v0
	s_add_co_i32 s4, s4, s3
	s_cmp_eq_u32 s5, 0
	s_cselect_b32 s3, ttmp9, s4
	s_delay_alu instid0(VALU_DEP_1) | instid1(SALU_CYCLE_1)
	v_lshl_or_b32 v2, s3, 4, v1
	s_wait_kmcnt 0x0
	s_delay_alu instid0(VALU_DEP_1)
	v_cmp_gt_u32_e32 vcc_lo, s2, v2
	s_and_saveexec_b32 s2, vcc_lo
	s_cbranch_execz .LBB7_6
; %bb.1:
	s_load_b64 s[2:3], s[0:1], 0x0
	v_and_b32_e32 v4, 63, v0
	s_wait_kmcnt 0x0
	s_delay_alu instid0(VALU_DEP_1)
	v_cmp_gt_i32_e32 vcc_lo, s2, v4
	s_and_b32 exec_lo, exec_lo, vcc_lo
	s_cbranch_execz .LBB7_6
; %bb.2:
	s_clause 0x2
	s_load_b128 s[12:15], s[0:1], 0x8
	s_load_b128 s[4:7], s[0:1], 0x20
	s_load_b32 s10, s[0:1], 0x30
	v_dual_mov_b32 v1, 0 :: v_dual_bitop2_b32 v0, 63, v0 bitop3:0x40
	v_mul_lo_u32 v5, v2, s2
	s_wait_xcnt 0x0
	s_mov_b32 s1, 0
	s_delay_alu instid0(VALU_DEP_2) | instskip(SKIP_1) | instid1(VALU_DEP_1)
	v_lshlrev_b32_e32 v0, 2, v0
	s_wait_kmcnt 0x0
	v_add_nc_u64_e32 v[2:3], s[12:13], v[0:1]
	s_lshl_b64 s[8:9], s[14:15], 2
	s_branch .LBB7_4
.LBB7_3:                                ;   in Loop: Header=BB7_4 Depth=1
	s_wait_xcnt 0x0
	s_or_b32 exec_lo, exec_lo, s0
	v_add_nc_u32_e32 v4, 64, v4
	v_add_nc_u64_e32 v[2:3], 0x100, v[2:3]
	s_delay_alu instid0(VALU_DEP_2) | instskip(SKIP_1) | instid1(SALU_CYCLE_1)
	v_cmp_le_i32_e32 vcc_lo, s2, v4
	s_or_b32 s1, vcc_lo, s1
	s_and_not1_b32 exec_lo, exec_lo, s1
	s_cbranch_execz .LBB7_6
.LBB7_4:                                ; =>This Inner Loop Header: Depth=1
	s_delay_alu instid0(VALU_DEP_3) | instskip(SKIP_3) | instid1(VALU_DEP_1)
	v_add_nc_u32_e32 v0, v5, v4
	global_load_b32 v6, v0, s[6:7] scale_offset
	s_wait_loadcnt 0x0
	v_subrev_nc_u32_e32 v6, s10, v6
	v_cmp_lt_i32_e32 vcc_lo, -1, v6
	v_cmp_gt_i32_e64 s0, s3, v6
	s_and_b32 s11, vcc_lo, s0
	s_wait_xcnt 0x0
	s_and_saveexec_b32 s0, s11
	s_cbranch_execz .LBB7_3
; %bb.5:                                ;   in Loop: Header=BB7_4 Depth=1
	v_mad_nc_u64_u32 v[8:9], s8, v6, v[2:3]
	s_delay_alu instid0(VALU_DEP_1)
	v_mad_u32 v9, s9, v6, v9
	v_lshl_add_u64 v[6:7], v[0:1], 2, s[4:5]
	global_load_b32 v8, v[8:9], off
	s_wait_loadcnt 0x0
	global_store_b32 v[6:7], v8, off
	s_branch .LBB7_3
.LBB7_6:
	s_endpgm
	.section	.rodata,"a",@progbits
	.p2align	6, 0x0
	.amdhsa_kernel _ZN9rocsparseL23sddmm_ell_sample_kernelILi16ELi64EfifEEvT2_S1_PKT3_lS1_PS2_PKS1_21rocsparse_index_base_
		.amdhsa_group_segment_fixed_size 0
		.amdhsa_private_segment_fixed_size 0
		.amdhsa_kernarg_size 52
		.amdhsa_user_sgpr_count 2
		.amdhsa_user_sgpr_dispatch_ptr 0
		.amdhsa_user_sgpr_queue_ptr 0
		.amdhsa_user_sgpr_kernarg_segment_ptr 1
		.amdhsa_user_sgpr_dispatch_id 0
		.amdhsa_user_sgpr_kernarg_preload_length 0
		.amdhsa_user_sgpr_kernarg_preload_offset 0
		.amdhsa_user_sgpr_private_segment_size 0
		.amdhsa_wavefront_size32 1
		.amdhsa_uses_dynamic_stack 0
		.amdhsa_enable_private_segment 0
		.amdhsa_system_sgpr_workgroup_id_x 1
		.amdhsa_system_sgpr_workgroup_id_y 0
		.amdhsa_system_sgpr_workgroup_id_z 0
		.amdhsa_system_sgpr_workgroup_info 0
		.amdhsa_system_vgpr_workitem_id 0
		.amdhsa_next_free_vgpr 10
		.amdhsa_next_free_sgpr 16
		.amdhsa_named_barrier_count 0
		.amdhsa_reserve_vcc 1
		.amdhsa_float_round_mode_32 0
		.amdhsa_float_round_mode_16_64 0
		.amdhsa_float_denorm_mode_32 3
		.amdhsa_float_denorm_mode_16_64 3
		.amdhsa_fp16_overflow 0
		.amdhsa_memory_ordered 1
		.amdhsa_forward_progress 1
		.amdhsa_inst_pref_size 3
		.amdhsa_round_robin_scheduling 0
		.amdhsa_exception_fp_ieee_invalid_op 0
		.amdhsa_exception_fp_denorm_src 0
		.amdhsa_exception_fp_ieee_div_zero 0
		.amdhsa_exception_fp_ieee_overflow 0
		.amdhsa_exception_fp_ieee_underflow 0
		.amdhsa_exception_fp_ieee_inexact 0
		.amdhsa_exception_int_div_zero 0
	.end_amdhsa_kernel
	.section	.text._ZN9rocsparseL23sddmm_ell_sample_kernelILi16ELi64EfifEEvT2_S1_PKT3_lS1_PS2_PKS1_21rocsparse_index_base_,"axG",@progbits,_ZN9rocsparseL23sddmm_ell_sample_kernelILi16ELi64EfifEEvT2_S1_PKT3_lS1_PS2_PKS1_21rocsparse_index_base_,comdat
.Lfunc_end7:
	.size	_ZN9rocsparseL23sddmm_ell_sample_kernelILi16ELi64EfifEEvT2_S1_PKT3_lS1_PS2_PKS1_21rocsparse_index_base_, .Lfunc_end7-_ZN9rocsparseL23sddmm_ell_sample_kernelILi16ELi64EfifEEvT2_S1_PKT3_lS1_PS2_PKS1_21rocsparse_index_base_
                                        ; -- End function
	.set _ZN9rocsparseL23sddmm_ell_sample_kernelILi16ELi64EfifEEvT2_S1_PKT3_lS1_PS2_PKS1_21rocsparse_index_base_.num_vgpr, 10
	.set _ZN9rocsparseL23sddmm_ell_sample_kernelILi16ELi64EfifEEvT2_S1_PKT3_lS1_PS2_PKS1_21rocsparse_index_base_.num_agpr, 0
	.set _ZN9rocsparseL23sddmm_ell_sample_kernelILi16ELi64EfifEEvT2_S1_PKT3_lS1_PS2_PKS1_21rocsparse_index_base_.numbered_sgpr, 16
	.set _ZN9rocsparseL23sddmm_ell_sample_kernelILi16ELi64EfifEEvT2_S1_PKT3_lS1_PS2_PKS1_21rocsparse_index_base_.num_named_barrier, 0
	.set _ZN9rocsparseL23sddmm_ell_sample_kernelILi16ELi64EfifEEvT2_S1_PKT3_lS1_PS2_PKS1_21rocsparse_index_base_.private_seg_size, 0
	.set _ZN9rocsparseL23sddmm_ell_sample_kernelILi16ELi64EfifEEvT2_S1_PKT3_lS1_PS2_PKS1_21rocsparse_index_base_.uses_vcc, 1
	.set _ZN9rocsparseL23sddmm_ell_sample_kernelILi16ELi64EfifEEvT2_S1_PKT3_lS1_PS2_PKS1_21rocsparse_index_base_.uses_flat_scratch, 0
	.set _ZN9rocsparseL23sddmm_ell_sample_kernelILi16ELi64EfifEEvT2_S1_PKT3_lS1_PS2_PKS1_21rocsparse_index_base_.has_dyn_sized_stack, 0
	.set _ZN9rocsparseL23sddmm_ell_sample_kernelILi16ELi64EfifEEvT2_S1_PKT3_lS1_PS2_PKS1_21rocsparse_index_base_.has_recursion, 0
	.set _ZN9rocsparseL23sddmm_ell_sample_kernelILi16ELi64EfifEEvT2_S1_PKT3_lS1_PS2_PKS1_21rocsparse_index_base_.has_indirect_call, 0
	.section	.AMDGPU.csdata,"",@progbits
; Kernel info:
; codeLenInByte = 352
; TotalNumSgprs: 18
; NumVgprs: 10
; ScratchSize: 0
; MemoryBound: 0
; FloatMode: 240
; IeeeMode: 1
; LDSByteSize: 0 bytes/workgroup (compile time only)
; SGPRBlocks: 0
; VGPRBlocks: 0
; NumSGPRsForWavesPerEU: 18
; NumVGPRsForWavesPerEU: 10
; NamedBarCnt: 0
; Occupancy: 16
; WaveLimiterHint : 1
; COMPUTE_PGM_RSRC2:SCRATCH_EN: 0
; COMPUTE_PGM_RSRC2:USER_SGPR: 2
; COMPUTE_PGM_RSRC2:TRAP_HANDLER: 0
; COMPUTE_PGM_RSRC2:TGID_X_EN: 1
; COMPUTE_PGM_RSRC2:TGID_Y_EN: 0
; COMPUTE_PGM_RSRC2:TGID_Z_EN: 0
; COMPUTE_PGM_RSRC2:TIDIG_COMP_CNT: 0
	.section	.text._ZN9rocsparseL16sddmm_ell_kernelILi512ELi8EfiifffEEv20rocsparse_operation_S1_16rocsparse_order_S2_T3_S3_S3_T2_NS_24const_host_device_scalarIT1_EEPKT4_lPKT5_lS7_PT6_PKS3_21rocsparse_index_base_b,"axG",@progbits,_ZN9rocsparseL16sddmm_ell_kernelILi512ELi8EfiifffEEv20rocsparse_operation_S1_16rocsparse_order_S2_T3_S3_S3_T2_NS_24const_host_device_scalarIT1_EEPKT4_lPKT5_lS7_PT6_PKS3_21rocsparse_index_base_b,comdat
	.globl	_ZN9rocsparseL16sddmm_ell_kernelILi512ELi8EfiifffEEv20rocsparse_operation_S1_16rocsparse_order_S2_T3_S3_S3_T2_NS_24const_host_device_scalarIT1_EEPKT4_lPKT5_lS7_PT6_PKS3_21rocsparse_index_base_b ; -- Begin function _ZN9rocsparseL16sddmm_ell_kernelILi512ELi8EfiifffEEv20rocsparse_operation_S1_16rocsparse_order_S2_T3_S3_S3_T2_NS_24const_host_device_scalarIT1_EEPKT4_lPKT5_lS7_PT6_PKS3_21rocsparse_index_base_b
	.p2align	8
	.type	_ZN9rocsparseL16sddmm_ell_kernelILi512ELi8EfiifffEEv20rocsparse_operation_S1_16rocsparse_order_S2_T3_S3_S3_T2_NS_24const_host_device_scalarIT1_EEPKT4_lPKT5_lS7_PT6_PKS3_21rocsparse_index_base_b,@function
_ZN9rocsparseL16sddmm_ell_kernelILi512ELi8EfiifffEEv20rocsparse_operation_S1_16rocsparse_order_S2_T3_S3_S3_T2_NS_24const_host_device_scalarIT1_EEPKT4_lPKT5_lS7_PT6_PKS3_21rocsparse_index_base_b: ; @_ZN9rocsparseL16sddmm_ell_kernelILi512ELi8EfiifffEEv20rocsparse_operation_S1_16rocsparse_order_S2_T3_S3_S3_T2_NS_24const_host_device_scalarIT1_EEPKT4_lPKT5_lS7_PT6_PKS3_21rocsparse_index_base_b
; %bb.0:
	s_clause 0x2
	s_load_b64 s[8:9], s[0:1], 0x60
	s_load_b64 s[2:3], s[0:1], 0x20
	s_load_b128 s[4:7], s[0:1], 0x40
	s_wait_kmcnt 0x0
	s_bitcmp1_b32 s9, 0
	s_cselect_b32 s9, -1, 0
	s_delay_alu instid0(SALU_CYCLE_1)
	s_and_b32 vcc_lo, exec_lo, s9
	s_xor_b32 s9, s9, -1
	s_cbranch_vccnz .LBB8_2
; %bb.1:
	s_load_b32 s2, s[2:3], 0x0
.LBB8_2:
	s_and_not1_b32 vcc_lo, exec_lo, s9
	s_cbranch_vccnz .LBB8_4
; %bb.3:
	s_load_b32 s6, s[6:7], 0x0
.LBB8_4:
	s_wait_kmcnt 0x0
	s_cmp_eq_f32 s2, 0
	s_cselect_b32 s3, -1, 0
	s_cmp_eq_f32 s6, 1.0
	s_cselect_b32 s7, -1, 0
	s_delay_alu instid0(SALU_CYCLE_1) | instskip(NEXT) | instid1(SALU_CYCLE_1)
	s_and_b32 s3, s3, s7
	s_and_b32 vcc_lo, exec_lo, s3
	s_cbranch_vccnz .LBB8_35
; %bb.5:
	s_load_b64 s[12:13], s[0:1], 0x18
	s_bfe_u32 s3, ttmp6, 0x4000c
	s_and_b32 s7, ttmp6, 15
	s_add_co_i32 s3, s3, 1
	s_getreg_b32 s9, hwreg(HW_REG_IB_STS2, 6, 4)
	s_mul_i32 s3, ttmp9, s3
	v_lshrrev_b32_e32 v10, 3, v0
	s_add_co_i32 s7, s7, s3
	s_cmp_eq_u32 s9, 0
	s_cselect_b32 s3, ttmp9, s7
	s_delay_alu instid0(VALU_DEP_1) | instid1(SALU_CYCLE_1)
	v_lshl_or_b32 v2, s3, 6, v10
	s_mov_b32 s3, exec_lo
	s_wait_kmcnt 0x0
	s_delay_alu instid0(VALU_DEP_1)
	v_cmpx_gt_i32_e64 s13, v2
	s_cbranch_execz .LBB8_35
; %bb.6:
	s_load_b64 s[10:11], s[0:1], 0x58
	s_mov_b32 s13, -1
	s_wait_kmcnt 0x0
	global_load_b32 v1, v2, s[10:11] scale_offset
	s_wait_loadcnt 0x0
	v_subrev_nc_u32_e32 v4, s8, v1
	s_delay_alu instid0(VALU_DEP_1)
	v_cmp_lt_i32_e32 vcc_lo, -1, v4
	s_and_b32 exec_lo, exec_lo, vcc_lo
	s_cbranch_execz .LBB8_35
; %bb.7:
	s_clause 0x1
	s_load_b128 s[8:11], s[0:1], 0x0
	s_load_b32 s14, s[0:1], 0x10
                                        ; implicit-def: $vgpr6_vgpr7
	s_wait_kmcnt 0x0
	s_cmp_eq_u32 s10, 1
	s_cselect_b32 s3, -1, 0
	s_cmp_eq_u32 s8, 0x6f
	s_cselect_b32 s7, -1, 0
	s_cmp_lg_u32 s8, 0x6f
	s_cselect_b32 s8, -1, 0
	s_abs_i32 s16, s14
	s_delay_alu instid0(SALU_CYCLE_1) | instskip(SKIP_1) | instid1(SALU_CYCLE_2)
	s_cvt_f32_u32 s14, s16
	s_sub_co_i32 s15, 0, s16
	v_rcp_iflag_f32_e32 v1, s14
	v_nop
	s_delay_alu instid0(TRANS32_DEP_1) | instskip(SKIP_2) | instid1(VALU_DEP_1)
	v_readfirstlane_b32 s14, v1
	v_sub_nc_u32_e32 v1, 0, v2
	s_mul_f32 s14, s14, 0x4f7ffffe
	v_max_i32_e32 v1, v2, v1
	s_delay_alu instid0(SALU_CYCLE_2) | instskip(NEXT) | instid1(SALU_CYCLE_3)
	s_cvt_u32_f32 s14, s14
	s_mul_i32 s15, s15, s14
	s_delay_alu instid0(SALU_CYCLE_1) | instskip(NEXT) | instid1(SALU_CYCLE_1)
	s_mul_hi_u32 s15, s14, s15
	s_add_co_i32 s14, s14, s15
	s_cmp_lg_u32 s10, 1
	v_mul_hi_u32 v3, v1, s14
	s_load_b64 s[14:15], s[0:1], 0x30
	s_delay_alu instid0(VALU_DEP_1) | instskip(NEXT) | instid1(VALU_DEP_1)
	v_mul_lo_u32 v3, v3, s16
	v_sub_nc_u32_e32 v1, v1, v3
	s_delay_alu instid0(VALU_DEP_1) | instskip(SKIP_1) | instid1(VALU_DEP_2)
	v_subrev_nc_u32_e32 v3, s16, v1
	v_cmp_le_u32_e32 vcc_lo, s16, v1
	v_dual_cndmask_b32 v1, v1, v3, vcc_lo :: v_dual_ashrrev_i32 v3, 31, v2
	s_delay_alu instid0(VALU_DEP_1) | instskip(SKIP_1) | instid1(VALU_DEP_2)
	v_subrev_nc_u32_e32 v5, s16, v1
	v_cmp_le_u32_e32 vcc_lo, s16, v1
	v_cndmask_b32_e32 v1, v1, v5, vcc_lo
	s_delay_alu instid0(VALU_DEP_1) | instskip(NEXT) | instid1(VALU_DEP_1)
	v_xor_b32_e32 v1, v1, v3
	v_sub_nc_u32_e32 v8, v1, v3
	s_delay_alu instid0(VALU_DEP_1)
	v_ashrrev_i32_e32 v9, 31, v8
	s_cbranch_scc0 .LBB8_11
; %bb.8:
	s_delay_alu instid0(VALU_DEP_1)
	v_mov_b64_e32 v[6:7], v[8:9]
	s_and_not1_b32 vcc_lo, exec_lo, s7
	s_cbranch_vccnz .LBB8_10
; %bb.9:
	s_wait_kmcnt 0x0
	v_mul_u64_e32 v[6:7], s[14:15], v[8:9]
.LBB8_10:
	s_mov_b32 s13, 0
.LBB8_11:
	s_delay_alu instid0(SALU_CYCLE_1)
	s_and_not1_b32 vcc_lo, exec_lo, s13
	s_cbranch_vccnz .LBB8_15
; %bb.12:
	s_and_not1_b32 vcc_lo, exec_lo, s8
	s_cbranch_vccnz .LBB8_14
; %bb.13:
	s_wait_kmcnt 0x0
	v_mul_u64_e32 v[8:9], s[14:15], v[8:9]
.LBB8_14:
	s_delay_alu instid0(VALU_DEP_1)
	v_mov_b64_e32 v[6:7], v[8:9]
.LBB8_15:
	s_cmp_eq_u32 s11, 1
	v_mov_b32_e32 v5, 0
	s_cselect_b32 s8, -1, 0
	s_cmp_eq_u32 s9, 0x6f
	s_cselect_b32 s13, -1, 0
	s_cmp_lg_u32 s9, 0x6f
	s_cselect_b32 s9, -1, 0
	s_cmp_lg_u32 s11, 1
	s_cbranch_scc0 .LBB8_19
; %bb.16:
	v_mov_b64_e32 v[8:9], v[4:5]
	s_and_not1_b32 vcc_lo, exec_lo, s9
	s_cbranch_vccnz .LBB8_18
; %bb.17:
	v_mul_u64_e32 v[8:9], s[4:5], v[4:5]
.LBB8_18:
	s_cbranch_execz .LBB8_20
	s_branch .LBB8_23
.LBB8_19:
                                        ; implicit-def: $vgpr8_vgpr9
.LBB8_20:
	s_and_not1_b32 vcc_lo, exec_lo, s13
	s_cbranch_vccnz .LBB8_22
; %bb.21:
	v_mul_u64_e32 v[4:5], s[4:5], v[4:5]
.LBB8_22:
	s_delay_alu instid0(VALU_DEP_1)
	v_mov_b64_e32 v[8:9], v[4:5]
.LBB8_23:
	v_dual_mov_b32 v1, 0 :: v_dual_bitop2_b32 v11, 7, v0 bitop3:0x40
	s_mov_b32 s10, exec_lo
	s_delay_alu instid0(VALU_DEP_1)
	v_cmpx_gt_i32_e64 s12, v11
	s_cbranch_execz .LBB8_27
; %bb.24:
	s_xor_b32 s3, s7, s3
	v_dual_mov_b32 v1, 0 :: v_dual_bitop2_b32 v0, 7, v0 bitop3:0x40
	s_and_b32 s3, s3, exec_lo
	s_wait_kmcnt 0x0
	s_cselect_b32 s15, 0, s15
	s_cselect_b32 s14, 1, s14
	s_xor_b32 s3, s13, s8
	v_mul_u64_e32 v[4:5], s[14:15], v[0:1]
	s_and_b32 s3, s3, exec_lo
	s_cselect_b32 s9, s5, 0
	s_cselect_b32 s8, s4, 1
	s_clause 0x1
	s_load_b64 s[4:5], s[0:1], 0x28
	s_load_b64 s[16:17], s[0:1], 0x38
	v_mul_u64_e32 v[12:13], s[8:9], v[0:1]
	v_lshlrev_b64_e32 v[6:7], 2, v[6:7]
	v_lshlrev_b64_e32 v[8:9], 2, v[8:9]
	v_mov_b32_e32 v0, v11
	s_mov_b32 s3, 0
	s_lshl_b64 s[8:9], s[8:9], 5
	s_delay_alu instid0(VALU_DEP_3) | instskip(NEXT) | instid1(VALU_DEP_3)
	v_lshl_add_u64 v[4:5], v[4:5], 2, v[6:7]
	v_lshl_add_u64 v[6:7], v[12:13], 2, v[8:9]
	s_wait_kmcnt 0x0
	s_delay_alu instid0(VALU_DEP_2) | instskip(SKIP_1) | instid1(VALU_DEP_2)
	v_add_nc_u64_e32 v[4:5], s[4:5], v[4:5]
	s_lshl_b64 s[4:5], s[14:15], 5
	v_add_nc_u64_e32 v[6:7], s[16:17], v[6:7]
.LBB8_25:                               ; =>This Inner Loop Header: Depth=1
	global_load_b32 v8, v[4:5], off
	global_load_b32 v9, v[6:7], off
	v_add_nc_u32_e32 v0, 8, v0
	s_wait_xcnt 0x1
	v_add_nc_u64_e32 v[4:5], s[4:5], v[4:5]
	s_wait_xcnt 0x0
	v_add_nc_u64_e32 v[6:7], s[8:9], v[6:7]
	s_wait_loadcnt 0x0
	v_fmac_f32_e32 v1, v8, v9
	v_cmp_le_i32_e32 vcc_lo, s12, v0
	s_or_b32 s3, vcc_lo, s3
	s_delay_alu instid0(SALU_CYCLE_1)
	s_and_not1_b32 exec_lo, exec_lo, s3
	s_cbranch_execnz .LBB8_25
; %bb.26:
	s_or_b32 exec_lo, exec_lo, s3
.LBB8_27:
	s_delay_alu instid0(SALU_CYCLE_1) | instskip(SKIP_4) | instid1(VALU_DEP_1)
	s_or_b32 exec_lo, exec_lo, s10
	s_wait_xcnt 0x0
	s_load_b64 s[0:1], s[0:1], 0x50
	v_lshlrev_b32_e32 v0, 5, v10
	s_mov_b32 s3, exec_lo
	v_lshl_or_b32 v4, v11, 2, v0
	ds_store_b32 v4, v1
	s_wait_dscnt 0x0
	s_barrier_signal -1
	s_barrier_wait -1
	v_cmpx_gt_u32_e32 4, v11
	s_cbranch_execz .LBB8_29
; %bb.28:
	ds_load_2addr_b32 v[6:7], v4 offset1:4
	s_wait_dscnt 0x0
	v_add_f32_e32 v1, v7, v6
	ds_store_b32 v4, v1
.LBB8_29:
	s_or_b32 exec_lo, exec_lo, s3
	s_delay_alu instid0(SALU_CYCLE_1)
	s_mov_b32 s3, exec_lo
	s_wait_dscnt 0x0
	s_barrier_signal -1
	s_barrier_wait -1
	v_cmpx_gt_u32_e32 2, v11
	s_cbranch_execz .LBB8_31
; %bb.30:
	ds_load_2addr_b32 v[6:7], v4 offset1:2
	s_wait_dscnt 0x0
	v_add_f32_e32 v1, v7, v6
	ds_store_b32 v4, v1
.LBB8_31:
	s_or_b32 exec_lo, exec_lo, s3
	v_cmp_eq_u32_e32 vcc_lo, 0, v11
	s_wait_dscnt 0x0
	s_barrier_signal -1
	s_barrier_wait -1
	s_and_saveexec_b32 s3, vcc_lo
	s_cbranch_execz .LBB8_33
; %bb.32:
	ds_load_2addr_b32 v[6:7], v4 offset1:1
	s_wait_dscnt 0x0
	v_add_f32_e32 v1, v7, v6
	ds_store_b32 v4, v1
.LBB8_33:
	s_or_b32 exec_lo, exec_lo, s3
	s_wait_dscnt 0x0
	s_barrier_signal -1
	s_barrier_wait -1
	s_and_b32 exec_lo, exec_lo, vcc_lo
	s_cbranch_execz .LBB8_35
; %bb.34:
	s_wait_kmcnt 0x0
	v_lshl_add_u64 v[2:3], v[2:3], 2, s[0:1]
	ds_load_b32 v5, v0
	v_dual_mov_b32 v0, s6 :: v_dual_mov_b32 v1, s2
	global_load_b32 v4, v[2:3], off
	s_wait_loadcnt_dscnt 0x0
	v_pk_mul_f32 v[0:1], v[0:1], v[4:5]
	s_delay_alu instid0(VALU_DEP_1)
	v_add_f32_e32 v0, v0, v1
	global_store_b32 v[2:3], v0, off
.LBB8_35:
	s_endpgm
	.section	.rodata,"a",@progbits
	.p2align	6, 0x0
	.amdhsa_kernel _ZN9rocsparseL16sddmm_ell_kernelILi512ELi8EfiifffEEv20rocsparse_operation_S1_16rocsparse_order_S2_T3_S3_S3_T2_NS_24const_host_device_scalarIT1_EEPKT4_lPKT5_lS7_PT6_PKS3_21rocsparse_index_base_b
		.amdhsa_group_segment_fixed_size 2048
		.amdhsa_private_segment_fixed_size 0
		.amdhsa_kernarg_size 104
		.amdhsa_user_sgpr_count 2
		.amdhsa_user_sgpr_dispatch_ptr 0
		.amdhsa_user_sgpr_queue_ptr 0
		.amdhsa_user_sgpr_kernarg_segment_ptr 1
		.amdhsa_user_sgpr_dispatch_id 0
		.amdhsa_user_sgpr_kernarg_preload_length 0
		.amdhsa_user_sgpr_kernarg_preload_offset 0
		.amdhsa_user_sgpr_private_segment_size 0
		.amdhsa_wavefront_size32 1
		.amdhsa_uses_dynamic_stack 0
		.amdhsa_enable_private_segment 0
		.amdhsa_system_sgpr_workgroup_id_x 1
		.amdhsa_system_sgpr_workgroup_id_y 0
		.amdhsa_system_sgpr_workgroup_id_z 0
		.amdhsa_system_sgpr_workgroup_info 0
		.amdhsa_system_vgpr_workitem_id 0
		.amdhsa_next_free_vgpr 14
		.amdhsa_next_free_sgpr 18
		.amdhsa_named_barrier_count 0
		.amdhsa_reserve_vcc 1
		.amdhsa_float_round_mode_32 0
		.amdhsa_float_round_mode_16_64 0
		.amdhsa_float_denorm_mode_32 3
		.amdhsa_float_denorm_mode_16_64 3
		.amdhsa_fp16_overflow 0
		.amdhsa_memory_ordered 1
		.amdhsa_forward_progress 1
		.amdhsa_inst_pref_size 10
		.amdhsa_round_robin_scheduling 0
		.amdhsa_exception_fp_ieee_invalid_op 0
		.amdhsa_exception_fp_denorm_src 0
		.amdhsa_exception_fp_ieee_div_zero 0
		.amdhsa_exception_fp_ieee_overflow 0
		.amdhsa_exception_fp_ieee_underflow 0
		.amdhsa_exception_fp_ieee_inexact 0
		.amdhsa_exception_int_div_zero 0
	.end_amdhsa_kernel
	.section	.text._ZN9rocsparseL16sddmm_ell_kernelILi512ELi8EfiifffEEv20rocsparse_operation_S1_16rocsparse_order_S2_T3_S3_S3_T2_NS_24const_host_device_scalarIT1_EEPKT4_lPKT5_lS7_PT6_PKS3_21rocsparse_index_base_b,"axG",@progbits,_ZN9rocsparseL16sddmm_ell_kernelILi512ELi8EfiifffEEv20rocsparse_operation_S1_16rocsparse_order_S2_T3_S3_S3_T2_NS_24const_host_device_scalarIT1_EEPKT4_lPKT5_lS7_PT6_PKS3_21rocsparse_index_base_b,comdat
.Lfunc_end8:
	.size	_ZN9rocsparseL16sddmm_ell_kernelILi512ELi8EfiifffEEv20rocsparse_operation_S1_16rocsparse_order_S2_T3_S3_S3_T2_NS_24const_host_device_scalarIT1_EEPKT4_lPKT5_lS7_PT6_PKS3_21rocsparse_index_base_b, .Lfunc_end8-_ZN9rocsparseL16sddmm_ell_kernelILi512ELi8EfiifffEEv20rocsparse_operation_S1_16rocsparse_order_S2_T3_S3_S3_T2_NS_24const_host_device_scalarIT1_EEPKT4_lPKT5_lS7_PT6_PKS3_21rocsparse_index_base_b
                                        ; -- End function
	.set _ZN9rocsparseL16sddmm_ell_kernelILi512ELi8EfiifffEEv20rocsparse_operation_S1_16rocsparse_order_S2_T3_S3_S3_T2_NS_24const_host_device_scalarIT1_EEPKT4_lPKT5_lS7_PT6_PKS3_21rocsparse_index_base_b.num_vgpr, 14
	.set _ZN9rocsparseL16sddmm_ell_kernelILi512ELi8EfiifffEEv20rocsparse_operation_S1_16rocsparse_order_S2_T3_S3_S3_T2_NS_24const_host_device_scalarIT1_EEPKT4_lPKT5_lS7_PT6_PKS3_21rocsparse_index_base_b.num_agpr, 0
	.set _ZN9rocsparseL16sddmm_ell_kernelILi512ELi8EfiifffEEv20rocsparse_operation_S1_16rocsparse_order_S2_T3_S3_S3_T2_NS_24const_host_device_scalarIT1_EEPKT4_lPKT5_lS7_PT6_PKS3_21rocsparse_index_base_b.numbered_sgpr, 18
	.set _ZN9rocsparseL16sddmm_ell_kernelILi512ELi8EfiifffEEv20rocsparse_operation_S1_16rocsparse_order_S2_T3_S3_S3_T2_NS_24const_host_device_scalarIT1_EEPKT4_lPKT5_lS7_PT6_PKS3_21rocsparse_index_base_b.num_named_barrier, 0
	.set _ZN9rocsparseL16sddmm_ell_kernelILi512ELi8EfiifffEEv20rocsparse_operation_S1_16rocsparse_order_S2_T3_S3_S3_T2_NS_24const_host_device_scalarIT1_EEPKT4_lPKT5_lS7_PT6_PKS3_21rocsparse_index_base_b.private_seg_size, 0
	.set _ZN9rocsparseL16sddmm_ell_kernelILi512ELi8EfiifffEEv20rocsparse_operation_S1_16rocsparse_order_S2_T3_S3_S3_T2_NS_24const_host_device_scalarIT1_EEPKT4_lPKT5_lS7_PT6_PKS3_21rocsparse_index_base_b.uses_vcc, 1
	.set _ZN9rocsparseL16sddmm_ell_kernelILi512ELi8EfiifffEEv20rocsparse_operation_S1_16rocsparse_order_S2_T3_S3_S3_T2_NS_24const_host_device_scalarIT1_EEPKT4_lPKT5_lS7_PT6_PKS3_21rocsparse_index_base_b.uses_flat_scratch, 0
	.set _ZN9rocsparseL16sddmm_ell_kernelILi512ELi8EfiifffEEv20rocsparse_operation_S1_16rocsparse_order_S2_T3_S3_S3_T2_NS_24const_host_device_scalarIT1_EEPKT4_lPKT5_lS7_PT6_PKS3_21rocsparse_index_base_b.has_dyn_sized_stack, 0
	.set _ZN9rocsparseL16sddmm_ell_kernelILi512ELi8EfiifffEEv20rocsparse_operation_S1_16rocsparse_order_S2_T3_S3_S3_T2_NS_24const_host_device_scalarIT1_EEPKT4_lPKT5_lS7_PT6_PKS3_21rocsparse_index_base_b.has_recursion, 0
	.set _ZN9rocsparseL16sddmm_ell_kernelILi512ELi8EfiifffEEv20rocsparse_operation_S1_16rocsparse_order_S2_T3_S3_S3_T2_NS_24const_host_device_scalarIT1_EEPKT4_lPKT5_lS7_PT6_PKS3_21rocsparse_index_base_b.has_indirect_call, 0
	.section	.AMDGPU.csdata,"",@progbits
; Kernel info:
; codeLenInByte = 1172
; TotalNumSgprs: 20
; NumVgprs: 14
; ScratchSize: 0
; MemoryBound: 0
; FloatMode: 240
; IeeeMode: 1
; LDSByteSize: 2048 bytes/workgroup (compile time only)
; SGPRBlocks: 0
; VGPRBlocks: 0
; NumSGPRsForWavesPerEU: 20
; NumVGPRsForWavesPerEU: 14
; NamedBarCnt: 0
; Occupancy: 16
; WaveLimiterHint : 0
; COMPUTE_PGM_RSRC2:SCRATCH_EN: 0
; COMPUTE_PGM_RSRC2:USER_SGPR: 2
; COMPUTE_PGM_RSRC2:TRAP_HANDLER: 0
; COMPUTE_PGM_RSRC2:TGID_X_EN: 1
; COMPUTE_PGM_RSRC2:TGID_Y_EN: 0
; COMPUTE_PGM_RSRC2:TGID_Z_EN: 0
; COMPUTE_PGM_RSRC2:TIDIG_COMP_CNT: 0
	.section	.text._ZN9rocsparseL16sddmm_ell_kernelILi512ELi4EfiifffEEv20rocsparse_operation_S1_16rocsparse_order_S2_T3_S3_S3_T2_NS_24const_host_device_scalarIT1_EEPKT4_lPKT5_lS7_PT6_PKS3_21rocsparse_index_base_b,"axG",@progbits,_ZN9rocsparseL16sddmm_ell_kernelILi512ELi4EfiifffEEv20rocsparse_operation_S1_16rocsparse_order_S2_T3_S3_S3_T2_NS_24const_host_device_scalarIT1_EEPKT4_lPKT5_lS7_PT6_PKS3_21rocsparse_index_base_b,comdat
	.globl	_ZN9rocsparseL16sddmm_ell_kernelILi512ELi4EfiifffEEv20rocsparse_operation_S1_16rocsparse_order_S2_T3_S3_S3_T2_NS_24const_host_device_scalarIT1_EEPKT4_lPKT5_lS7_PT6_PKS3_21rocsparse_index_base_b ; -- Begin function _ZN9rocsparseL16sddmm_ell_kernelILi512ELi4EfiifffEEv20rocsparse_operation_S1_16rocsparse_order_S2_T3_S3_S3_T2_NS_24const_host_device_scalarIT1_EEPKT4_lPKT5_lS7_PT6_PKS3_21rocsparse_index_base_b
	.p2align	8
	.type	_ZN9rocsparseL16sddmm_ell_kernelILi512ELi4EfiifffEEv20rocsparse_operation_S1_16rocsparse_order_S2_T3_S3_S3_T2_NS_24const_host_device_scalarIT1_EEPKT4_lPKT5_lS7_PT6_PKS3_21rocsparse_index_base_b,@function
_ZN9rocsparseL16sddmm_ell_kernelILi512ELi4EfiifffEEv20rocsparse_operation_S1_16rocsparse_order_S2_T3_S3_S3_T2_NS_24const_host_device_scalarIT1_EEPKT4_lPKT5_lS7_PT6_PKS3_21rocsparse_index_base_b: ; @_ZN9rocsparseL16sddmm_ell_kernelILi512ELi4EfiifffEEv20rocsparse_operation_S1_16rocsparse_order_S2_T3_S3_S3_T2_NS_24const_host_device_scalarIT1_EEPKT4_lPKT5_lS7_PT6_PKS3_21rocsparse_index_base_b
; %bb.0:
	s_clause 0x2
	s_load_b64 s[8:9], s[0:1], 0x60
	s_load_b64 s[2:3], s[0:1], 0x20
	s_load_b128 s[4:7], s[0:1], 0x40
	s_wait_kmcnt 0x0
	s_bitcmp1_b32 s9, 0
	s_cselect_b32 s9, -1, 0
	s_delay_alu instid0(SALU_CYCLE_1)
	s_and_b32 vcc_lo, exec_lo, s9
	s_xor_b32 s9, s9, -1
	s_cbranch_vccnz .LBB9_2
; %bb.1:
	s_load_b32 s2, s[2:3], 0x0
.LBB9_2:
	s_and_not1_b32 vcc_lo, exec_lo, s9
	s_cbranch_vccnz .LBB9_4
; %bb.3:
	s_load_b32 s6, s[6:7], 0x0
.LBB9_4:
	s_wait_kmcnt 0x0
	s_cmp_eq_f32 s2, 0
	s_cselect_b32 s3, -1, 0
	s_cmp_eq_f32 s6, 1.0
	s_cselect_b32 s7, -1, 0
	s_delay_alu instid0(SALU_CYCLE_1) | instskip(NEXT) | instid1(SALU_CYCLE_1)
	s_and_b32 s3, s3, s7
	s_and_b32 vcc_lo, exec_lo, s3
	s_cbranch_vccnz .LBB9_33
; %bb.5:
	s_load_b64 s[12:13], s[0:1], 0x18
	s_bfe_u32 s3, ttmp6, 0x4000c
	s_and_b32 s7, ttmp6, 15
	s_add_co_i32 s3, s3, 1
	s_getreg_b32 s9, hwreg(HW_REG_IB_STS2, 6, 4)
	s_mul_i32 s3, ttmp9, s3
	v_lshrrev_b32_e32 v10, 2, v0
	s_add_co_i32 s7, s7, s3
	s_cmp_eq_u32 s9, 0
	s_cselect_b32 s3, ttmp9, s7
	s_delay_alu instid0(VALU_DEP_1) | instid1(SALU_CYCLE_1)
	v_lshl_or_b32 v2, s3, 7, v10
	s_mov_b32 s3, exec_lo
	s_wait_kmcnt 0x0
	s_delay_alu instid0(VALU_DEP_1)
	v_cmpx_gt_i32_e64 s13, v2
	s_cbranch_execz .LBB9_33
; %bb.6:
	s_load_b64 s[10:11], s[0:1], 0x58
	s_mov_b32 s13, -1
	s_wait_kmcnt 0x0
	global_load_b32 v1, v2, s[10:11] scale_offset
	s_wait_loadcnt 0x0
	v_subrev_nc_u32_e32 v4, s8, v1
	s_delay_alu instid0(VALU_DEP_1)
	v_cmp_lt_i32_e32 vcc_lo, -1, v4
	s_and_b32 exec_lo, exec_lo, vcc_lo
	s_cbranch_execz .LBB9_33
; %bb.7:
	s_clause 0x1
	s_load_b128 s[8:11], s[0:1], 0x0
	s_load_b32 s14, s[0:1], 0x10
                                        ; implicit-def: $vgpr6_vgpr7
	s_wait_kmcnt 0x0
	s_cmp_eq_u32 s10, 1
	s_cselect_b32 s3, -1, 0
	s_cmp_eq_u32 s8, 0x6f
	s_cselect_b32 s7, -1, 0
	s_cmp_lg_u32 s8, 0x6f
	s_cselect_b32 s8, -1, 0
	s_abs_i32 s16, s14
	s_delay_alu instid0(SALU_CYCLE_1) | instskip(SKIP_1) | instid1(SALU_CYCLE_2)
	s_cvt_f32_u32 s14, s16
	s_sub_co_i32 s15, 0, s16
	v_rcp_iflag_f32_e32 v1, s14
	v_nop
	s_delay_alu instid0(TRANS32_DEP_1) | instskip(SKIP_2) | instid1(VALU_DEP_1)
	v_readfirstlane_b32 s14, v1
	v_sub_nc_u32_e32 v1, 0, v2
	s_mul_f32 s14, s14, 0x4f7ffffe
	v_max_i32_e32 v1, v2, v1
	s_delay_alu instid0(SALU_CYCLE_2) | instskip(NEXT) | instid1(SALU_CYCLE_3)
	s_cvt_u32_f32 s14, s14
	s_mul_i32 s15, s15, s14
	s_delay_alu instid0(SALU_CYCLE_1) | instskip(NEXT) | instid1(SALU_CYCLE_1)
	s_mul_hi_u32 s15, s14, s15
	s_add_co_i32 s14, s14, s15
	s_cmp_lg_u32 s10, 1
	v_mul_hi_u32 v3, v1, s14
	s_load_b64 s[14:15], s[0:1], 0x30
	s_delay_alu instid0(VALU_DEP_1) | instskip(NEXT) | instid1(VALU_DEP_1)
	v_mul_lo_u32 v3, v3, s16
	v_sub_nc_u32_e32 v1, v1, v3
	s_delay_alu instid0(VALU_DEP_1) | instskip(SKIP_1) | instid1(VALU_DEP_2)
	v_subrev_nc_u32_e32 v3, s16, v1
	v_cmp_le_u32_e32 vcc_lo, s16, v1
	v_dual_cndmask_b32 v1, v1, v3, vcc_lo :: v_dual_ashrrev_i32 v3, 31, v2
	s_delay_alu instid0(VALU_DEP_1) | instskip(SKIP_1) | instid1(VALU_DEP_2)
	v_subrev_nc_u32_e32 v5, s16, v1
	v_cmp_le_u32_e32 vcc_lo, s16, v1
	v_cndmask_b32_e32 v1, v1, v5, vcc_lo
	s_delay_alu instid0(VALU_DEP_1) | instskip(NEXT) | instid1(VALU_DEP_1)
	v_xor_b32_e32 v1, v1, v3
	v_sub_nc_u32_e32 v8, v1, v3
	s_delay_alu instid0(VALU_DEP_1)
	v_ashrrev_i32_e32 v9, 31, v8
	s_cbranch_scc0 .LBB9_11
; %bb.8:
	s_delay_alu instid0(VALU_DEP_1)
	v_mov_b64_e32 v[6:7], v[8:9]
	s_and_not1_b32 vcc_lo, exec_lo, s7
	s_cbranch_vccnz .LBB9_10
; %bb.9:
	s_wait_kmcnt 0x0
	v_mul_u64_e32 v[6:7], s[14:15], v[8:9]
.LBB9_10:
	s_mov_b32 s13, 0
.LBB9_11:
	s_delay_alu instid0(SALU_CYCLE_1)
	s_and_not1_b32 vcc_lo, exec_lo, s13
	s_cbranch_vccnz .LBB9_15
; %bb.12:
	s_and_not1_b32 vcc_lo, exec_lo, s8
	s_cbranch_vccnz .LBB9_14
; %bb.13:
	s_wait_kmcnt 0x0
	v_mul_u64_e32 v[8:9], s[14:15], v[8:9]
.LBB9_14:
	s_delay_alu instid0(VALU_DEP_1)
	v_mov_b64_e32 v[6:7], v[8:9]
.LBB9_15:
	s_cmp_eq_u32 s11, 1
	v_mov_b32_e32 v5, 0
	s_cselect_b32 s8, -1, 0
	s_cmp_eq_u32 s9, 0x6f
	s_cselect_b32 s13, -1, 0
	s_cmp_lg_u32 s9, 0x6f
	s_cselect_b32 s9, -1, 0
	s_cmp_lg_u32 s11, 1
	s_cbranch_scc0 .LBB9_19
; %bb.16:
	v_mov_b64_e32 v[8:9], v[4:5]
	s_and_not1_b32 vcc_lo, exec_lo, s9
	s_cbranch_vccnz .LBB9_18
; %bb.17:
	v_mul_u64_e32 v[8:9], s[4:5], v[4:5]
.LBB9_18:
	s_cbranch_execz .LBB9_20
	s_branch .LBB9_23
.LBB9_19:
                                        ; implicit-def: $vgpr8_vgpr9
.LBB9_20:
	s_and_not1_b32 vcc_lo, exec_lo, s13
	s_cbranch_vccnz .LBB9_22
; %bb.21:
	v_mul_u64_e32 v[4:5], s[4:5], v[4:5]
.LBB9_22:
	s_delay_alu instid0(VALU_DEP_1)
	v_mov_b64_e32 v[8:9], v[4:5]
.LBB9_23:
	v_dual_mov_b32 v1, 0 :: v_dual_bitop2_b32 v11, 3, v0 bitop3:0x40
	s_mov_b32 s10, exec_lo
	s_delay_alu instid0(VALU_DEP_1)
	v_cmpx_gt_i32_e64 s12, v11
	s_cbranch_execz .LBB9_27
; %bb.24:
	s_xor_b32 s3, s7, s3
	v_dual_mov_b32 v1, 0 :: v_dual_bitop2_b32 v0, 3, v0 bitop3:0x40
	s_and_b32 s3, s3, exec_lo
	s_wait_kmcnt 0x0
	s_cselect_b32 s15, 0, s15
	s_cselect_b32 s14, 1, s14
	s_xor_b32 s3, s13, s8
	v_mul_u64_e32 v[4:5], s[14:15], v[0:1]
	s_and_b32 s3, s3, exec_lo
	s_cselect_b32 s9, s5, 0
	s_cselect_b32 s8, s4, 1
	s_clause 0x1
	s_load_b64 s[4:5], s[0:1], 0x28
	s_load_b64 s[16:17], s[0:1], 0x38
	v_mul_u64_e32 v[12:13], s[8:9], v[0:1]
	v_lshlrev_b64_e32 v[6:7], 2, v[6:7]
	v_lshlrev_b64_e32 v[8:9], 2, v[8:9]
	v_mov_b32_e32 v0, v11
	s_mov_b32 s3, 0
	s_lshl_b64 s[8:9], s[8:9], 4
	s_delay_alu instid0(VALU_DEP_3) | instskip(NEXT) | instid1(VALU_DEP_3)
	v_lshl_add_u64 v[4:5], v[4:5], 2, v[6:7]
	v_lshl_add_u64 v[6:7], v[12:13], 2, v[8:9]
	s_wait_kmcnt 0x0
	s_delay_alu instid0(VALU_DEP_2) | instskip(SKIP_1) | instid1(VALU_DEP_2)
	v_add_nc_u64_e32 v[4:5], s[4:5], v[4:5]
	s_lshl_b64 s[4:5], s[14:15], 4
	v_add_nc_u64_e32 v[6:7], s[16:17], v[6:7]
.LBB9_25:                               ; =>This Inner Loop Header: Depth=1
	global_load_b32 v8, v[4:5], off
	global_load_b32 v9, v[6:7], off
	v_add_nc_u32_e32 v0, 4, v0
	s_wait_xcnt 0x1
	v_add_nc_u64_e32 v[4:5], s[4:5], v[4:5]
	s_wait_xcnt 0x0
	v_add_nc_u64_e32 v[6:7], s[8:9], v[6:7]
	s_wait_loadcnt 0x0
	v_fmac_f32_e32 v1, v8, v9
	v_cmp_le_i32_e32 vcc_lo, s12, v0
	s_or_b32 s3, vcc_lo, s3
	s_delay_alu instid0(SALU_CYCLE_1)
	s_and_not1_b32 exec_lo, exec_lo, s3
	s_cbranch_execnz .LBB9_25
; %bb.26:
	s_or_b32 exec_lo, exec_lo, s3
.LBB9_27:
	s_delay_alu instid0(SALU_CYCLE_1) | instskip(SKIP_4) | instid1(VALU_DEP_1)
	s_or_b32 exec_lo, exec_lo, s10
	s_wait_xcnt 0x0
	s_load_b64 s[0:1], s[0:1], 0x50
	v_lshlrev_b32_e32 v0, 4, v10
	s_mov_b32 s3, exec_lo
	v_lshl_or_b32 v4, v11, 2, v0
	ds_store_b32 v4, v1
	s_wait_dscnt 0x0
	s_barrier_signal -1
	s_barrier_wait -1
	v_cmpx_gt_u32_e32 2, v11
	s_cbranch_execz .LBB9_29
; %bb.28:
	ds_load_2addr_b32 v[6:7], v4 offset1:2
	s_wait_dscnt 0x0
	v_add_f32_e32 v1, v7, v6
	ds_store_b32 v4, v1
.LBB9_29:
	s_or_b32 exec_lo, exec_lo, s3
	v_cmp_eq_u32_e32 vcc_lo, 0, v11
	s_wait_dscnt 0x0
	s_barrier_signal -1
	s_barrier_wait -1
	s_and_saveexec_b32 s3, vcc_lo
	s_cbranch_execz .LBB9_31
; %bb.30:
	ds_load_2addr_b32 v[6:7], v4 offset1:1
	s_wait_dscnt 0x0
	v_add_f32_e32 v1, v7, v6
	ds_store_b32 v4, v1
.LBB9_31:
	s_or_b32 exec_lo, exec_lo, s3
	s_wait_dscnt 0x0
	s_barrier_signal -1
	s_barrier_wait -1
	s_and_b32 exec_lo, exec_lo, vcc_lo
	s_cbranch_execz .LBB9_33
; %bb.32:
	s_wait_kmcnt 0x0
	v_lshl_add_u64 v[2:3], v[2:3], 2, s[0:1]
	ds_load_b32 v5, v0
	v_dual_mov_b32 v0, s6 :: v_dual_mov_b32 v1, s2
	global_load_b32 v4, v[2:3], off
	s_wait_loadcnt_dscnt 0x0
	v_pk_mul_f32 v[0:1], v[0:1], v[4:5]
	s_delay_alu instid0(VALU_DEP_1)
	v_add_f32_e32 v0, v0, v1
	global_store_b32 v[2:3], v0, off
.LBB9_33:
	s_endpgm
	.section	.rodata,"a",@progbits
	.p2align	6, 0x0
	.amdhsa_kernel _ZN9rocsparseL16sddmm_ell_kernelILi512ELi4EfiifffEEv20rocsparse_operation_S1_16rocsparse_order_S2_T3_S3_S3_T2_NS_24const_host_device_scalarIT1_EEPKT4_lPKT5_lS7_PT6_PKS3_21rocsparse_index_base_b
		.amdhsa_group_segment_fixed_size 2048
		.amdhsa_private_segment_fixed_size 0
		.amdhsa_kernarg_size 104
		.amdhsa_user_sgpr_count 2
		.amdhsa_user_sgpr_dispatch_ptr 0
		.amdhsa_user_sgpr_queue_ptr 0
		.amdhsa_user_sgpr_kernarg_segment_ptr 1
		.amdhsa_user_sgpr_dispatch_id 0
		.amdhsa_user_sgpr_kernarg_preload_length 0
		.amdhsa_user_sgpr_kernarg_preload_offset 0
		.amdhsa_user_sgpr_private_segment_size 0
		.amdhsa_wavefront_size32 1
		.amdhsa_uses_dynamic_stack 0
		.amdhsa_enable_private_segment 0
		.amdhsa_system_sgpr_workgroup_id_x 1
		.amdhsa_system_sgpr_workgroup_id_y 0
		.amdhsa_system_sgpr_workgroup_id_z 0
		.amdhsa_system_sgpr_workgroup_info 0
		.amdhsa_system_vgpr_workitem_id 0
		.amdhsa_next_free_vgpr 14
		.amdhsa_next_free_sgpr 18
		.amdhsa_named_barrier_count 0
		.amdhsa_reserve_vcc 1
		.amdhsa_float_round_mode_32 0
		.amdhsa_float_round_mode_16_64 0
		.amdhsa_float_denorm_mode_32 3
		.amdhsa_float_denorm_mode_16_64 3
		.amdhsa_fp16_overflow 0
		.amdhsa_memory_ordered 1
		.amdhsa_forward_progress 1
		.amdhsa_inst_pref_size 9
		.amdhsa_round_robin_scheduling 0
		.amdhsa_exception_fp_ieee_invalid_op 0
		.amdhsa_exception_fp_denorm_src 0
		.amdhsa_exception_fp_ieee_div_zero 0
		.amdhsa_exception_fp_ieee_overflow 0
		.amdhsa_exception_fp_ieee_underflow 0
		.amdhsa_exception_fp_ieee_inexact 0
		.amdhsa_exception_int_div_zero 0
	.end_amdhsa_kernel
	.section	.text._ZN9rocsparseL16sddmm_ell_kernelILi512ELi4EfiifffEEv20rocsparse_operation_S1_16rocsparse_order_S2_T3_S3_S3_T2_NS_24const_host_device_scalarIT1_EEPKT4_lPKT5_lS7_PT6_PKS3_21rocsparse_index_base_b,"axG",@progbits,_ZN9rocsparseL16sddmm_ell_kernelILi512ELi4EfiifffEEv20rocsparse_operation_S1_16rocsparse_order_S2_T3_S3_S3_T2_NS_24const_host_device_scalarIT1_EEPKT4_lPKT5_lS7_PT6_PKS3_21rocsparse_index_base_b,comdat
.Lfunc_end9:
	.size	_ZN9rocsparseL16sddmm_ell_kernelILi512ELi4EfiifffEEv20rocsparse_operation_S1_16rocsparse_order_S2_T3_S3_S3_T2_NS_24const_host_device_scalarIT1_EEPKT4_lPKT5_lS7_PT6_PKS3_21rocsparse_index_base_b, .Lfunc_end9-_ZN9rocsparseL16sddmm_ell_kernelILi512ELi4EfiifffEEv20rocsparse_operation_S1_16rocsparse_order_S2_T3_S3_S3_T2_NS_24const_host_device_scalarIT1_EEPKT4_lPKT5_lS7_PT6_PKS3_21rocsparse_index_base_b
                                        ; -- End function
	.set _ZN9rocsparseL16sddmm_ell_kernelILi512ELi4EfiifffEEv20rocsparse_operation_S1_16rocsparse_order_S2_T3_S3_S3_T2_NS_24const_host_device_scalarIT1_EEPKT4_lPKT5_lS7_PT6_PKS3_21rocsparse_index_base_b.num_vgpr, 14
	.set _ZN9rocsparseL16sddmm_ell_kernelILi512ELi4EfiifffEEv20rocsparse_operation_S1_16rocsparse_order_S2_T3_S3_S3_T2_NS_24const_host_device_scalarIT1_EEPKT4_lPKT5_lS7_PT6_PKS3_21rocsparse_index_base_b.num_agpr, 0
	.set _ZN9rocsparseL16sddmm_ell_kernelILi512ELi4EfiifffEEv20rocsparse_operation_S1_16rocsparse_order_S2_T3_S3_S3_T2_NS_24const_host_device_scalarIT1_EEPKT4_lPKT5_lS7_PT6_PKS3_21rocsparse_index_base_b.numbered_sgpr, 18
	.set _ZN9rocsparseL16sddmm_ell_kernelILi512ELi4EfiifffEEv20rocsparse_operation_S1_16rocsparse_order_S2_T3_S3_S3_T2_NS_24const_host_device_scalarIT1_EEPKT4_lPKT5_lS7_PT6_PKS3_21rocsparse_index_base_b.num_named_barrier, 0
	.set _ZN9rocsparseL16sddmm_ell_kernelILi512ELi4EfiifffEEv20rocsparse_operation_S1_16rocsparse_order_S2_T3_S3_S3_T2_NS_24const_host_device_scalarIT1_EEPKT4_lPKT5_lS7_PT6_PKS3_21rocsparse_index_base_b.private_seg_size, 0
	.set _ZN9rocsparseL16sddmm_ell_kernelILi512ELi4EfiifffEEv20rocsparse_operation_S1_16rocsparse_order_S2_T3_S3_S3_T2_NS_24const_host_device_scalarIT1_EEPKT4_lPKT5_lS7_PT6_PKS3_21rocsparse_index_base_b.uses_vcc, 1
	.set _ZN9rocsparseL16sddmm_ell_kernelILi512ELi4EfiifffEEv20rocsparse_operation_S1_16rocsparse_order_S2_T3_S3_S3_T2_NS_24const_host_device_scalarIT1_EEPKT4_lPKT5_lS7_PT6_PKS3_21rocsparse_index_base_b.uses_flat_scratch, 0
	.set _ZN9rocsparseL16sddmm_ell_kernelILi512ELi4EfiifffEEv20rocsparse_operation_S1_16rocsparse_order_S2_T3_S3_S3_T2_NS_24const_host_device_scalarIT1_EEPKT4_lPKT5_lS7_PT6_PKS3_21rocsparse_index_base_b.has_dyn_sized_stack, 0
	.set _ZN9rocsparseL16sddmm_ell_kernelILi512ELi4EfiifffEEv20rocsparse_operation_S1_16rocsparse_order_S2_T3_S3_S3_T2_NS_24const_host_device_scalarIT1_EEPKT4_lPKT5_lS7_PT6_PKS3_21rocsparse_index_base_b.has_recursion, 0
	.set _ZN9rocsparseL16sddmm_ell_kernelILi512ELi4EfiifffEEv20rocsparse_operation_S1_16rocsparse_order_S2_T3_S3_S3_T2_NS_24const_host_device_scalarIT1_EEPKT4_lPKT5_lS7_PT6_PKS3_21rocsparse_index_base_b.has_indirect_call, 0
	.section	.AMDGPU.csdata,"",@progbits
; Kernel info:
; codeLenInByte = 1116
; TotalNumSgprs: 20
; NumVgprs: 14
; ScratchSize: 0
; MemoryBound: 0
; FloatMode: 240
; IeeeMode: 1
; LDSByteSize: 2048 bytes/workgroup (compile time only)
; SGPRBlocks: 0
; VGPRBlocks: 0
; NumSGPRsForWavesPerEU: 20
; NumVGPRsForWavesPerEU: 14
; NamedBarCnt: 0
; Occupancy: 16
; WaveLimiterHint : 0
; COMPUTE_PGM_RSRC2:SCRATCH_EN: 0
; COMPUTE_PGM_RSRC2:USER_SGPR: 2
; COMPUTE_PGM_RSRC2:TRAP_HANDLER: 0
; COMPUTE_PGM_RSRC2:TGID_X_EN: 1
; COMPUTE_PGM_RSRC2:TGID_Y_EN: 0
; COMPUTE_PGM_RSRC2:TGID_Z_EN: 0
; COMPUTE_PGM_RSRC2:TIDIG_COMP_CNT: 0
	.section	.text._ZN9rocsparseL16sddmm_ell_kernelILi512ELi2EfiifffEEv20rocsparse_operation_S1_16rocsparse_order_S2_T3_S3_S3_T2_NS_24const_host_device_scalarIT1_EEPKT4_lPKT5_lS7_PT6_PKS3_21rocsparse_index_base_b,"axG",@progbits,_ZN9rocsparseL16sddmm_ell_kernelILi512ELi2EfiifffEEv20rocsparse_operation_S1_16rocsparse_order_S2_T3_S3_S3_T2_NS_24const_host_device_scalarIT1_EEPKT4_lPKT5_lS7_PT6_PKS3_21rocsparse_index_base_b,comdat
	.globl	_ZN9rocsparseL16sddmm_ell_kernelILi512ELi2EfiifffEEv20rocsparse_operation_S1_16rocsparse_order_S2_T3_S3_S3_T2_NS_24const_host_device_scalarIT1_EEPKT4_lPKT5_lS7_PT6_PKS3_21rocsparse_index_base_b ; -- Begin function _ZN9rocsparseL16sddmm_ell_kernelILi512ELi2EfiifffEEv20rocsparse_operation_S1_16rocsparse_order_S2_T3_S3_S3_T2_NS_24const_host_device_scalarIT1_EEPKT4_lPKT5_lS7_PT6_PKS3_21rocsparse_index_base_b
	.p2align	8
	.type	_ZN9rocsparseL16sddmm_ell_kernelILi512ELi2EfiifffEEv20rocsparse_operation_S1_16rocsparse_order_S2_T3_S3_S3_T2_NS_24const_host_device_scalarIT1_EEPKT4_lPKT5_lS7_PT6_PKS3_21rocsparse_index_base_b,@function
_ZN9rocsparseL16sddmm_ell_kernelILi512ELi2EfiifffEEv20rocsparse_operation_S1_16rocsparse_order_S2_T3_S3_S3_T2_NS_24const_host_device_scalarIT1_EEPKT4_lPKT5_lS7_PT6_PKS3_21rocsparse_index_base_b: ; @_ZN9rocsparseL16sddmm_ell_kernelILi512ELi2EfiifffEEv20rocsparse_operation_S1_16rocsparse_order_S2_T3_S3_S3_T2_NS_24const_host_device_scalarIT1_EEPKT4_lPKT5_lS7_PT6_PKS3_21rocsparse_index_base_b
; %bb.0:
	s_clause 0x2
	s_load_b64 s[8:9], s[0:1], 0x60
	s_load_b64 s[2:3], s[0:1], 0x20
	s_load_b128 s[4:7], s[0:1], 0x40
	s_wait_kmcnt 0x0
	s_bitcmp1_b32 s9, 0
	s_cselect_b32 s9, -1, 0
	s_delay_alu instid0(SALU_CYCLE_1)
	s_and_b32 vcc_lo, exec_lo, s9
	s_xor_b32 s9, s9, -1
	s_cbranch_vccnz .LBB10_2
; %bb.1:
	s_load_b32 s2, s[2:3], 0x0
.LBB10_2:
	s_and_not1_b32 vcc_lo, exec_lo, s9
	s_cbranch_vccnz .LBB10_4
; %bb.3:
	s_load_b32 s6, s[6:7], 0x0
.LBB10_4:
	s_wait_kmcnt 0x0
	s_cmp_eq_f32 s2, 0
	s_cselect_b32 s3, -1, 0
	s_cmp_eq_f32 s6, 1.0
	s_cselect_b32 s7, -1, 0
	s_delay_alu instid0(SALU_CYCLE_1) | instskip(NEXT) | instid1(SALU_CYCLE_1)
	s_and_b32 s3, s3, s7
	s_and_b32 vcc_lo, exec_lo, s3
	s_cbranch_vccnz .LBB10_31
; %bb.5:
	s_load_b64 s[12:13], s[0:1], 0x18
	s_bfe_u32 s3, ttmp6, 0x4000c
	s_and_b32 s7, ttmp6, 15
	s_add_co_i32 s3, s3, 1
	s_getreg_b32 s9, hwreg(HW_REG_IB_STS2, 6, 4)
	s_mul_i32 s3, ttmp9, s3
	v_lshrrev_b32_e32 v10, 1, v0
	s_add_co_i32 s7, s7, s3
	s_cmp_eq_u32 s9, 0
	s_cselect_b32 s3, ttmp9, s7
	s_delay_alu instid0(VALU_DEP_1) | instid1(SALU_CYCLE_1)
	v_lshl_or_b32 v2, s3, 8, v10
	s_mov_b32 s3, exec_lo
	s_wait_kmcnt 0x0
	s_delay_alu instid0(VALU_DEP_1)
	v_cmpx_gt_i32_e64 s13, v2
	s_cbranch_execz .LBB10_31
; %bb.6:
	s_load_b64 s[10:11], s[0:1], 0x58
	s_mov_b32 s13, -1
	s_wait_kmcnt 0x0
	global_load_b32 v1, v2, s[10:11] scale_offset
	s_wait_loadcnt 0x0
	v_subrev_nc_u32_e32 v4, s8, v1
	s_delay_alu instid0(VALU_DEP_1)
	v_cmp_lt_i32_e32 vcc_lo, -1, v4
	s_and_b32 exec_lo, exec_lo, vcc_lo
	s_cbranch_execz .LBB10_31
; %bb.7:
	s_clause 0x1
	s_load_b128 s[8:11], s[0:1], 0x0
	s_load_b32 s14, s[0:1], 0x10
                                        ; implicit-def: $vgpr6_vgpr7
	s_wait_kmcnt 0x0
	s_cmp_eq_u32 s10, 1
	s_cselect_b32 s3, -1, 0
	s_cmp_eq_u32 s8, 0x6f
	s_cselect_b32 s7, -1, 0
	s_cmp_lg_u32 s8, 0x6f
	s_cselect_b32 s8, -1, 0
	s_abs_i32 s16, s14
	s_delay_alu instid0(SALU_CYCLE_1) | instskip(SKIP_1) | instid1(SALU_CYCLE_2)
	s_cvt_f32_u32 s14, s16
	s_sub_co_i32 s15, 0, s16
	v_rcp_iflag_f32_e32 v1, s14
	v_nop
	s_delay_alu instid0(TRANS32_DEP_1) | instskip(SKIP_2) | instid1(VALU_DEP_1)
	v_readfirstlane_b32 s14, v1
	v_sub_nc_u32_e32 v1, 0, v2
	s_mul_f32 s14, s14, 0x4f7ffffe
	v_max_i32_e32 v1, v2, v1
	s_delay_alu instid0(SALU_CYCLE_2) | instskip(NEXT) | instid1(SALU_CYCLE_3)
	s_cvt_u32_f32 s14, s14
	s_mul_i32 s15, s15, s14
	s_delay_alu instid0(SALU_CYCLE_1) | instskip(NEXT) | instid1(SALU_CYCLE_1)
	s_mul_hi_u32 s15, s14, s15
	s_add_co_i32 s14, s14, s15
	s_cmp_lg_u32 s10, 1
	v_mul_hi_u32 v3, v1, s14
	s_load_b64 s[14:15], s[0:1], 0x30
	s_delay_alu instid0(VALU_DEP_1) | instskip(NEXT) | instid1(VALU_DEP_1)
	v_mul_lo_u32 v3, v3, s16
	v_sub_nc_u32_e32 v1, v1, v3
	s_delay_alu instid0(VALU_DEP_1) | instskip(SKIP_1) | instid1(VALU_DEP_2)
	v_subrev_nc_u32_e32 v3, s16, v1
	v_cmp_le_u32_e32 vcc_lo, s16, v1
	v_dual_cndmask_b32 v1, v1, v3, vcc_lo :: v_dual_ashrrev_i32 v3, 31, v2
	s_delay_alu instid0(VALU_DEP_1) | instskip(SKIP_1) | instid1(VALU_DEP_2)
	v_subrev_nc_u32_e32 v5, s16, v1
	v_cmp_le_u32_e32 vcc_lo, s16, v1
	v_cndmask_b32_e32 v1, v1, v5, vcc_lo
	s_delay_alu instid0(VALU_DEP_1) | instskip(NEXT) | instid1(VALU_DEP_1)
	v_xor_b32_e32 v1, v1, v3
	v_sub_nc_u32_e32 v8, v1, v3
	s_delay_alu instid0(VALU_DEP_1)
	v_ashrrev_i32_e32 v9, 31, v8
	s_cbranch_scc0 .LBB10_11
; %bb.8:
	s_delay_alu instid0(VALU_DEP_1)
	v_mov_b64_e32 v[6:7], v[8:9]
	s_and_not1_b32 vcc_lo, exec_lo, s7
	s_cbranch_vccnz .LBB10_10
; %bb.9:
	s_wait_kmcnt 0x0
	v_mul_u64_e32 v[6:7], s[14:15], v[8:9]
.LBB10_10:
	s_mov_b32 s13, 0
.LBB10_11:
	s_delay_alu instid0(SALU_CYCLE_1)
	s_and_not1_b32 vcc_lo, exec_lo, s13
	s_cbranch_vccnz .LBB10_15
; %bb.12:
	s_and_not1_b32 vcc_lo, exec_lo, s8
	s_cbranch_vccnz .LBB10_14
; %bb.13:
	s_wait_kmcnt 0x0
	v_mul_u64_e32 v[8:9], s[14:15], v[8:9]
.LBB10_14:
	s_delay_alu instid0(VALU_DEP_1)
	v_mov_b64_e32 v[6:7], v[8:9]
.LBB10_15:
	s_cmp_eq_u32 s11, 1
	v_mov_b32_e32 v5, 0
	s_cselect_b32 s8, -1, 0
	s_cmp_eq_u32 s9, 0x6f
	s_cselect_b32 s13, -1, 0
	s_cmp_lg_u32 s9, 0x6f
	s_cselect_b32 s9, -1, 0
	s_cmp_lg_u32 s11, 1
	s_cbranch_scc0 .LBB10_19
; %bb.16:
	v_mov_b64_e32 v[8:9], v[4:5]
	s_and_not1_b32 vcc_lo, exec_lo, s9
	s_cbranch_vccnz .LBB10_18
; %bb.17:
	v_mul_u64_e32 v[8:9], s[4:5], v[4:5]
.LBB10_18:
	s_cbranch_execz .LBB10_20
	s_branch .LBB10_23
.LBB10_19:
                                        ; implicit-def: $vgpr8_vgpr9
.LBB10_20:
	s_and_not1_b32 vcc_lo, exec_lo, s13
	s_cbranch_vccnz .LBB10_22
; %bb.21:
	v_mul_u64_e32 v[4:5], s[4:5], v[4:5]
.LBB10_22:
	s_delay_alu instid0(VALU_DEP_1)
	v_mov_b64_e32 v[8:9], v[4:5]
.LBB10_23:
	v_dual_mov_b32 v1, 0 :: v_dual_bitop2_b32 v11, 1, v0 bitop3:0x40
	s_mov_b32 s10, exec_lo
	s_delay_alu instid0(VALU_DEP_1)
	v_cmpx_gt_i32_e64 s12, v11
	s_cbranch_execz .LBB10_27
; %bb.24:
	s_xor_b32 s3, s7, s3
	v_dual_mov_b32 v1, 0 :: v_dual_bitop2_b32 v0, 1, v0 bitop3:0x40
	s_and_b32 s3, s3, exec_lo
	s_wait_kmcnt 0x0
	s_cselect_b32 s15, 0, s15
	s_cselect_b32 s14, 1, s14
	s_xor_b32 s3, s13, s8
	v_mul_u64_e32 v[4:5], s[14:15], v[0:1]
	s_and_b32 s3, s3, exec_lo
	s_cselect_b32 s9, s5, 0
	s_cselect_b32 s8, s4, 1
	s_clause 0x1
	s_load_b64 s[4:5], s[0:1], 0x28
	s_load_b64 s[16:17], s[0:1], 0x38
	v_mul_u64_e32 v[12:13], s[8:9], v[0:1]
	v_lshlrev_b64_e32 v[6:7], 2, v[6:7]
	v_lshlrev_b64_e32 v[8:9], 2, v[8:9]
	v_mov_b32_e32 v0, v11
	s_mov_b32 s3, 0
	s_lshl_b64 s[8:9], s[8:9], 3
	s_delay_alu instid0(VALU_DEP_3) | instskip(NEXT) | instid1(VALU_DEP_3)
	v_lshl_add_u64 v[4:5], v[4:5], 2, v[6:7]
	v_lshl_add_u64 v[6:7], v[12:13], 2, v[8:9]
	s_wait_kmcnt 0x0
	s_delay_alu instid0(VALU_DEP_2) | instskip(SKIP_1) | instid1(VALU_DEP_2)
	v_add_nc_u64_e32 v[4:5], s[4:5], v[4:5]
	s_lshl_b64 s[4:5], s[14:15], 3
	v_add_nc_u64_e32 v[6:7], s[16:17], v[6:7]
.LBB10_25:                              ; =>This Inner Loop Header: Depth=1
	global_load_b32 v8, v[4:5], off
	global_load_b32 v9, v[6:7], off
	v_add_nc_u32_e32 v0, 2, v0
	s_wait_xcnt 0x1
	v_add_nc_u64_e32 v[4:5], s[4:5], v[4:5]
	s_wait_xcnt 0x0
	v_add_nc_u64_e32 v[6:7], s[8:9], v[6:7]
	s_wait_loadcnt 0x0
	v_fmac_f32_e32 v1, v8, v9
	v_cmp_le_i32_e32 vcc_lo, s12, v0
	s_or_b32 s3, vcc_lo, s3
	s_delay_alu instid0(SALU_CYCLE_1)
	s_and_not1_b32 exec_lo, exec_lo, s3
	s_cbranch_execnz .LBB10_25
; %bb.26:
	s_or_b32 exec_lo, exec_lo, s3
.LBB10_27:
	s_delay_alu instid0(SALU_CYCLE_1) | instskip(SKIP_4) | instid1(VALU_DEP_2)
	s_or_b32 exec_lo, exec_lo, s10
	s_wait_xcnt 0x0
	s_load_b64 s[0:1], s[0:1], 0x50
	v_lshlrev_b32_e32 v0, 3, v10
	v_cmp_eq_u32_e32 vcc_lo, 0, v11
	v_lshl_or_b32 v4, v11, 2, v0
	ds_store_b32 v4, v1
	s_wait_dscnt 0x0
	s_barrier_signal -1
	s_barrier_wait -1
	s_and_saveexec_b32 s3, vcc_lo
	s_cbranch_execz .LBB10_29
; %bb.28:
	ds_load_b32 v1, v0 offset:4
	ds_load_b32 v5, v4
	s_wait_dscnt 0x0
	v_add_f32_e32 v1, v1, v5
	ds_store_b32 v4, v1
.LBB10_29:
	s_or_b32 exec_lo, exec_lo, s3
	s_wait_dscnt 0x0
	s_barrier_signal -1
	s_barrier_wait -1
	s_and_b32 exec_lo, exec_lo, vcc_lo
	s_cbranch_execz .LBB10_31
; %bb.30:
	s_wait_kmcnt 0x0
	v_lshl_add_u64 v[2:3], v[2:3], 2, s[0:1]
	ds_load_b32 v5, v0
	v_dual_mov_b32 v0, s6 :: v_dual_mov_b32 v1, s2
	global_load_b32 v4, v[2:3], off
	s_wait_loadcnt_dscnt 0x0
	v_pk_mul_f32 v[0:1], v[0:1], v[4:5]
	s_delay_alu instid0(VALU_DEP_1)
	v_add_f32_e32 v0, v0, v1
	global_store_b32 v[2:3], v0, off
.LBB10_31:
	s_endpgm
	.section	.rodata,"a",@progbits
	.p2align	6, 0x0
	.amdhsa_kernel _ZN9rocsparseL16sddmm_ell_kernelILi512ELi2EfiifffEEv20rocsparse_operation_S1_16rocsparse_order_S2_T3_S3_S3_T2_NS_24const_host_device_scalarIT1_EEPKT4_lPKT5_lS7_PT6_PKS3_21rocsparse_index_base_b
		.amdhsa_group_segment_fixed_size 2048
		.amdhsa_private_segment_fixed_size 0
		.amdhsa_kernarg_size 104
		.amdhsa_user_sgpr_count 2
		.amdhsa_user_sgpr_dispatch_ptr 0
		.amdhsa_user_sgpr_queue_ptr 0
		.amdhsa_user_sgpr_kernarg_segment_ptr 1
		.amdhsa_user_sgpr_dispatch_id 0
		.amdhsa_user_sgpr_kernarg_preload_length 0
		.amdhsa_user_sgpr_kernarg_preload_offset 0
		.amdhsa_user_sgpr_private_segment_size 0
		.amdhsa_wavefront_size32 1
		.amdhsa_uses_dynamic_stack 0
		.amdhsa_enable_private_segment 0
		.amdhsa_system_sgpr_workgroup_id_x 1
		.amdhsa_system_sgpr_workgroup_id_y 0
		.amdhsa_system_sgpr_workgroup_id_z 0
		.amdhsa_system_sgpr_workgroup_info 0
		.amdhsa_system_vgpr_workitem_id 0
		.amdhsa_next_free_vgpr 14
		.amdhsa_next_free_sgpr 18
		.amdhsa_named_barrier_count 0
		.amdhsa_reserve_vcc 1
		.amdhsa_float_round_mode_32 0
		.amdhsa_float_round_mode_16_64 0
		.amdhsa_float_denorm_mode_32 3
		.amdhsa_float_denorm_mode_16_64 3
		.amdhsa_fp16_overflow 0
		.amdhsa_memory_ordered 1
		.amdhsa_forward_progress 1
		.amdhsa_inst_pref_size 9
		.amdhsa_round_robin_scheduling 0
		.amdhsa_exception_fp_ieee_invalid_op 0
		.amdhsa_exception_fp_denorm_src 0
		.amdhsa_exception_fp_ieee_div_zero 0
		.amdhsa_exception_fp_ieee_overflow 0
		.amdhsa_exception_fp_ieee_underflow 0
		.amdhsa_exception_fp_ieee_inexact 0
		.amdhsa_exception_int_div_zero 0
	.end_amdhsa_kernel
	.section	.text._ZN9rocsparseL16sddmm_ell_kernelILi512ELi2EfiifffEEv20rocsparse_operation_S1_16rocsparse_order_S2_T3_S3_S3_T2_NS_24const_host_device_scalarIT1_EEPKT4_lPKT5_lS7_PT6_PKS3_21rocsparse_index_base_b,"axG",@progbits,_ZN9rocsparseL16sddmm_ell_kernelILi512ELi2EfiifffEEv20rocsparse_operation_S1_16rocsparse_order_S2_T3_S3_S3_T2_NS_24const_host_device_scalarIT1_EEPKT4_lPKT5_lS7_PT6_PKS3_21rocsparse_index_base_b,comdat
.Lfunc_end10:
	.size	_ZN9rocsparseL16sddmm_ell_kernelILi512ELi2EfiifffEEv20rocsparse_operation_S1_16rocsparse_order_S2_T3_S3_S3_T2_NS_24const_host_device_scalarIT1_EEPKT4_lPKT5_lS7_PT6_PKS3_21rocsparse_index_base_b, .Lfunc_end10-_ZN9rocsparseL16sddmm_ell_kernelILi512ELi2EfiifffEEv20rocsparse_operation_S1_16rocsparse_order_S2_T3_S3_S3_T2_NS_24const_host_device_scalarIT1_EEPKT4_lPKT5_lS7_PT6_PKS3_21rocsparse_index_base_b
                                        ; -- End function
	.set _ZN9rocsparseL16sddmm_ell_kernelILi512ELi2EfiifffEEv20rocsparse_operation_S1_16rocsparse_order_S2_T3_S3_S3_T2_NS_24const_host_device_scalarIT1_EEPKT4_lPKT5_lS7_PT6_PKS3_21rocsparse_index_base_b.num_vgpr, 14
	.set _ZN9rocsparseL16sddmm_ell_kernelILi512ELi2EfiifffEEv20rocsparse_operation_S1_16rocsparse_order_S2_T3_S3_S3_T2_NS_24const_host_device_scalarIT1_EEPKT4_lPKT5_lS7_PT6_PKS3_21rocsparse_index_base_b.num_agpr, 0
	.set _ZN9rocsparseL16sddmm_ell_kernelILi512ELi2EfiifffEEv20rocsparse_operation_S1_16rocsparse_order_S2_T3_S3_S3_T2_NS_24const_host_device_scalarIT1_EEPKT4_lPKT5_lS7_PT6_PKS3_21rocsparse_index_base_b.numbered_sgpr, 18
	.set _ZN9rocsparseL16sddmm_ell_kernelILi512ELi2EfiifffEEv20rocsparse_operation_S1_16rocsparse_order_S2_T3_S3_S3_T2_NS_24const_host_device_scalarIT1_EEPKT4_lPKT5_lS7_PT6_PKS3_21rocsparse_index_base_b.num_named_barrier, 0
	.set _ZN9rocsparseL16sddmm_ell_kernelILi512ELi2EfiifffEEv20rocsparse_operation_S1_16rocsparse_order_S2_T3_S3_S3_T2_NS_24const_host_device_scalarIT1_EEPKT4_lPKT5_lS7_PT6_PKS3_21rocsparse_index_base_b.private_seg_size, 0
	.set _ZN9rocsparseL16sddmm_ell_kernelILi512ELi2EfiifffEEv20rocsparse_operation_S1_16rocsparse_order_S2_T3_S3_S3_T2_NS_24const_host_device_scalarIT1_EEPKT4_lPKT5_lS7_PT6_PKS3_21rocsparse_index_base_b.uses_vcc, 1
	.set _ZN9rocsparseL16sddmm_ell_kernelILi512ELi2EfiifffEEv20rocsparse_operation_S1_16rocsparse_order_S2_T3_S3_S3_T2_NS_24const_host_device_scalarIT1_EEPKT4_lPKT5_lS7_PT6_PKS3_21rocsparse_index_base_b.uses_flat_scratch, 0
	.set _ZN9rocsparseL16sddmm_ell_kernelILi512ELi2EfiifffEEv20rocsparse_operation_S1_16rocsparse_order_S2_T3_S3_S3_T2_NS_24const_host_device_scalarIT1_EEPKT4_lPKT5_lS7_PT6_PKS3_21rocsparse_index_base_b.has_dyn_sized_stack, 0
	.set _ZN9rocsparseL16sddmm_ell_kernelILi512ELi2EfiifffEEv20rocsparse_operation_S1_16rocsparse_order_S2_T3_S3_S3_T2_NS_24const_host_device_scalarIT1_EEPKT4_lPKT5_lS7_PT6_PKS3_21rocsparse_index_base_b.has_recursion, 0
	.set _ZN9rocsparseL16sddmm_ell_kernelILi512ELi2EfiifffEEv20rocsparse_operation_S1_16rocsparse_order_S2_T3_S3_S3_T2_NS_24const_host_device_scalarIT1_EEPKT4_lPKT5_lS7_PT6_PKS3_21rocsparse_index_base_b.has_indirect_call, 0
	.section	.AMDGPU.csdata,"",@progbits
; Kernel info:
; codeLenInByte = 1072
; TotalNumSgprs: 20
; NumVgprs: 14
; ScratchSize: 0
; MemoryBound: 0
; FloatMode: 240
; IeeeMode: 1
; LDSByteSize: 2048 bytes/workgroup (compile time only)
; SGPRBlocks: 0
; VGPRBlocks: 0
; NumSGPRsForWavesPerEU: 20
; NumVGPRsForWavesPerEU: 14
; NamedBarCnt: 0
; Occupancy: 16
; WaveLimiterHint : 0
; COMPUTE_PGM_RSRC2:SCRATCH_EN: 0
; COMPUTE_PGM_RSRC2:USER_SGPR: 2
; COMPUTE_PGM_RSRC2:TRAP_HANDLER: 0
; COMPUTE_PGM_RSRC2:TGID_X_EN: 1
; COMPUTE_PGM_RSRC2:TGID_Y_EN: 0
; COMPUTE_PGM_RSRC2:TGID_Z_EN: 0
; COMPUTE_PGM_RSRC2:TIDIG_COMP_CNT: 0
	.section	.text._ZN9rocsparseL16sddmm_ell_kernelILi512ELi1EfiifffEEv20rocsparse_operation_S1_16rocsparse_order_S2_T3_S3_S3_T2_NS_24const_host_device_scalarIT1_EEPKT4_lPKT5_lS7_PT6_PKS3_21rocsparse_index_base_b,"axG",@progbits,_ZN9rocsparseL16sddmm_ell_kernelILi512ELi1EfiifffEEv20rocsparse_operation_S1_16rocsparse_order_S2_T3_S3_S3_T2_NS_24const_host_device_scalarIT1_EEPKT4_lPKT5_lS7_PT6_PKS3_21rocsparse_index_base_b,comdat
	.globl	_ZN9rocsparseL16sddmm_ell_kernelILi512ELi1EfiifffEEv20rocsparse_operation_S1_16rocsparse_order_S2_T3_S3_S3_T2_NS_24const_host_device_scalarIT1_EEPKT4_lPKT5_lS7_PT6_PKS3_21rocsparse_index_base_b ; -- Begin function _ZN9rocsparseL16sddmm_ell_kernelILi512ELi1EfiifffEEv20rocsparse_operation_S1_16rocsparse_order_S2_T3_S3_S3_T2_NS_24const_host_device_scalarIT1_EEPKT4_lPKT5_lS7_PT6_PKS3_21rocsparse_index_base_b
	.p2align	8
	.type	_ZN9rocsparseL16sddmm_ell_kernelILi512ELi1EfiifffEEv20rocsparse_operation_S1_16rocsparse_order_S2_T3_S3_S3_T2_NS_24const_host_device_scalarIT1_EEPKT4_lPKT5_lS7_PT6_PKS3_21rocsparse_index_base_b,@function
_ZN9rocsparseL16sddmm_ell_kernelILi512ELi1EfiifffEEv20rocsparse_operation_S1_16rocsparse_order_S2_T3_S3_S3_T2_NS_24const_host_device_scalarIT1_EEPKT4_lPKT5_lS7_PT6_PKS3_21rocsparse_index_base_b: ; @_ZN9rocsparseL16sddmm_ell_kernelILi512ELi1EfiifffEEv20rocsparse_operation_S1_16rocsparse_order_S2_T3_S3_S3_T2_NS_24const_host_device_scalarIT1_EEPKT4_lPKT5_lS7_PT6_PKS3_21rocsparse_index_base_b
; %bb.0:
	s_clause 0x2
	s_load_b64 s[8:9], s[0:1], 0x60
	s_load_b64 s[2:3], s[0:1], 0x20
	s_load_b128 s[4:7], s[0:1], 0x40
	s_wait_kmcnt 0x0
	s_bitcmp1_b32 s9, 0
	s_cselect_b32 s9, -1, 0
	s_delay_alu instid0(SALU_CYCLE_1)
	s_and_b32 vcc_lo, exec_lo, s9
	s_xor_b32 s9, s9, -1
	s_cbranch_vccnz .LBB11_2
; %bb.1:
	s_load_b32 s2, s[2:3], 0x0
.LBB11_2:
	s_and_not1_b32 vcc_lo, exec_lo, s9
	s_cbranch_vccnz .LBB11_4
; %bb.3:
	s_load_b32 s6, s[6:7], 0x0
.LBB11_4:
	s_wait_kmcnt 0x0
	s_cmp_eq_f32 s2, 0
	s_cselect_b32 s3, -1, 0
	s_cmp_eq_f32 s6, 1.0
	s_cselect_b32 s7, -1, 0
	s_delay_alu instid0(SALU_CYCLE_1) | instskip(NEXT) | instid1(SALU_CYCLE_1)
	s_and_b32 s3, s3, s7
	s_and_b32 vcc_lo, exec_lo, s3
	s_cbranch_vccnz .LBB11_28
; %bb.5:
	s_load_b64 s[12:13], s[0:1], 0x18
	s_bfe_u32 s3, ttmp6, 0x4000c
	s_and_b32 s7, ttmp6, 15
	s_add_co_i32 s3, s3, 1
	s_getreg_b32 s9, hwreg(HW_REG_IB_STS2, 6, 4)
	s_mul_i32 s3, ttmp9, s3
	s_delay_alu instid0(SALU_CYCLE_1) | instskip(SKIP_2) | instid1(SALU_CYCLE_1)
	s_add_co_i32 s7, s7, s3
	s_cmp_eq_u32 s9, 0
	s_cselect_b32 s3, ttmp9, s7
	v_lshl_or_b32 v2, s3, 9, v0
	s_mov_b32 s3, exec_lo
	s_wait_kmcnt 0x0
	s_delay_alu instid0(VALU_DEP_1)
	v_cmpx_gt_i32_e64 s13, v2
	s_cbranch_execz .LBB11_28
; %bb.6:
	s_load_b64 s[10:11], s[0:1], 0x58
	s_mov_b32 s13, -1
	s_wait_kmcnt 0x0
	global_load_b32 v1, v2, s[10:11] scale_offset
	s_wait_loadcnt 0x0
	v_subrev_nc_u32_e32 v4, s8, v1
	s_delay_alu instid0(VALU_DEP_1)
	v_cmp_lt_i32_e32 vcc_lo, -1, v4
	s_and_b32 exec_lo, exec_lo, vcc_lo
	s_cbranch_execz .LBB11_28
; %bb.7:
	s_clause 0x1
	s_load_b128 s[8:11], s[0:1], 0x0
	s_load_b32 s14, s[0:1], 0x10
                                        ; implicit-def: $vgpr6_vgpr7
	s_wait_kmcnt 0x0
	s_cmp_eq_u32 s10, 1
	s_cselect_b32 s3, -1, 0
	s_cmp_eq_u32 s8, 0x6f
	s_cselect_b32 s7, -1, 0
	s_cmp_lg_u32 s8, 0x6f
	s_cselect_b32 s8, -1, 0
	s_abs_i32 s16, s14
	s_delay_alu instid0(SALU_CYCLE_1) | instskip(SKIP_1) | instid1(SALU_CYCLE_2)
	s_cvt_f32_u32 s14, s16
	s_sub_co_i32 s15, 0, s16
	v_rcp_iflag_f32_e32 v1, s14
	v_nop
	s_delay_alu instid0(TRANS32_DEP_1) | instskip(SKIP_2) | instid1(VALU_DEP_1)
	v_readfirstlane_b32 s14, v1
	v_sub_nc_u32_e32 v1, 0, v2
	s_mul_f32 s14, s14, 0x4f7ffffe
	v_max_i32_e32 v1, v2, v1
	s_delay_alu instid0(SALU_CYCLE_2) | instskip(NEXT) | instid1(SALU_CYCLE_3)
	s_cvt_u32_f32 s14, s14
	s_mul_i32 s15, s15, s14
	s_delay_alu instid0(SALU_CYCLE_1) | instskip(NEXT) | instid1(SALU_CYCLE_1)
	s_mul_hi_u32 s15, s14, s15
	s_add_co_i32 s14, s14, s15
	s_cmp_lg_u32 s10, 1
	v_mul_hi_u32 v3, v1, s14
	s_load_b64 s[14:15], s[0:1], 0x30
	s_delay_alu instid0(VALU_DEP_1) | instskip(NEXT) | instid1(VALU_DEP_1)
	v_mul_lo_u32 v3, v3, s16
	v_sub_nc_u32_e32 v1, v1, v3
	s_delay_alu instid0(VALU_DEP_1) | instskip(SKIP_1) | instid1(VALU_DEP_2)
	v_subrev_nc_u32_e32 v3, s16, v1
	v_cmp_le_u32_e32 vcc_lo, s16, v1
	v_dual_cndmask_b32 v1, v1, v3, vcc_lo :: v_dual_ashrrev_i32 v3, 31, v2
	s_delay_alu instid0(VALU_DEP_1) | instskip(SKIP_1) | instid1(VALU_DEP_2)
	v_subrev_nc_u32_e32 v5, s16, v1
	v_cmp_le_u32_e32 vcc_lo, s16, v1
	v_cndmask_b32_e32 v1, v1, v5, vcc_lo
	s_delay_alu instid0(VALU_DEP_1) | instskip(NEXT) | instid1(VALU_DEP_1)
	v_xor_b32_e32 v1, v1, v3
	v_sub_nc_u32_e32 v8, v1, v3
	s_delay_alu instid0(VALU_DEP_1)
	v_ashrrev_i32_e32 v9, 31, v8
	s_cbranch_scc0 .LBB11_11
; %bb.8:
	s_delay_alu instid0(VALU_DEP_1)
	v_mov_b64_e32 v[6:7], v[8:9]
	s_and_not1_b32 vcc_lo, exec_lo, s7
	s_cbranch_vccnz .LBB11_10
; %bb.9:
	s_wait_kmcnt 0x0
	v_mul_u64_e32 v[6:7], s[14:15], v[8:9]
.LBB11_10:
	s_mov_b32 s13, 0
.LBB11_11:
	s_delay_alu instid0(SALU_CYCLE_1)
	s_and_not1_b32 vcc_lo, exec_lo, s13
	s_cbranch_vccnz .LBB11_15
; %bb.12:
	s_and_not1_b32 vcc_lo, exec_lo, s8
	s_cbranch_vccnz .LBB11_14
; %bb.13:
	s_wait_kmcnt 0x0
	v_mul_u64_e32 v[8:9], s[14:15], v[8:9]
.LBB11_14:
	s_delay_alu instid0(VALU_DEP_1)
	v_mov_b64_e32 v[6:7], v[8:9]
.LBB11_15:
	s_cmp_eq_u32 s11, 1
	v_mov_b32_e32 v5, 0
	s_cselect_b32 s8, -1, 0
	s_cmp_eq_u32 s9, 0x6f
	s_cselect_b32 s10, -1, 0
	s_cmp_lg_u32 s9, 0x6f
	s_cselect_b32 s9, -1, 0
	s_cmp_lg_u32 s11, 1
	s_cbranch_scc0 .LBB11_19
; %bb.16:
	v_mov_b64_e32 v[8:9], v[4:5]
	s_and_not1_b32 vcc_lo, exec_lo, s9
	s_cbranch_vccnz .LBB11_18
; %bb.17:
	v_mul_u64_e32 v[8:9], s[4:5], v[4:5]
.LBB11_18:
	s_cbranch_execz .LBB11_20
	s_branch .LBB11_23
.LBB11_19:
                                        ; implicit-def: $vgpr8_vgpr9
.LBB11_20:
	s_and_not1_b32 vcc_lo, exec_lo, s10
	s_cbranch_vccnz .LBB11_22
; %bb.21:
	v_mul_u64_e32 v[4:5], s[4:5], v[4:5]
.LBB11_22:
	s_delay_alu instid0(VALU_DEP_1)
	v_mov_b64_e32 v[8:9], v[4:5]
.LBB11_23:
	s_cmp_lt_i32 s12, 1
	s_cbranch_scc1 .LBB11_26
; %bb.24:
	s_clause 0x1
	s_load_b64 s[16:17], s[0:1], 0x38
	s_load_b64 s[18:19], s[0:1], 0x28
	s_xor_b32 s3, s7, s3
	v_mov_b32_e32 v1, 0
	s_and_b32 s3, s3, exec_lo
	s_wait_kmcnt 0x0
	s_cselect_b32 s15, 0, s15
	s_cselect_b32 s14, 1, s14
	s_xor_b32 s3, s10, s8
	s_delay_alu instid0(SALU_CYCLE_1) | instskip(SKIP_4) | instid1(VALU_DEP_2)
	s_and_b32 s3, s3, exec_lo
	s_cselect_b32 s9, s5, 0
	s_cselect_b32 s8, s4, 1
	s_lshl_b64 s[4:5], s[14:15], 2
	s_lshl_b64 s[8:9], s[8:9], 2
	v_lshl_add_u64 v[4:5], v[8:9], 2, s[16:17]
	v_lshl_add_u64 v[6:7], v[6:7], 2, s[18:19]
.LBB11_25:                              ; =>This Inner Loop Header: Depth=1
	global_load_b32 v8, v[6:7], off
	global_load_b32 v9, v[4:5], off
	s_wait_xcnt 0x1
	v_add_nc_u64_e32 v[6:7], s[4:5], v[6:7]
	s_wait_xcnt 0x0
	v_add_nc_u64_e32 v[4:5], s[8:9], v[4:5]
	s_add_co_i32 s12, s12, -1
	s_delay_alu instid0(SALU_CYCLE_1)
	s_cmp_eq_u32 s12, 0
	s_wait_loadcnt 0x0
	v_fmac_f32_e32 v1, v8, v9
	s_cbranch_scc0 .LBB11_25
	s_branch .LBB11_27
.LBB11_26:
	v_mov_b32_e32 v1, 0
.LBB11_27:
	s_wait_xcnt 0x0
	s_load_b64 s[0:1], s[0:1], 0x50
	v_dual_mov_b32 v5, s2 :: v_dual_lshlrev_b32 v4, 2, v0
	ds_store_b32 v4, v1
	s_wait_dscnt 0x0
	s_barrier_signal -1
	s_barrier_wait -1
	ds_load_b32 v1, v4
	v_mov_b32_e32 v4, s6
	s_wait_kmcnt 0x0
	v_lshl_add_u64 v[2:3], v[2:3], 2, s[0:1]
	global_load_b32 v0, v[2:3], off
	s_wait_loadcnt_dscnt 0x0
	v_pk_mul_f32 v[0:1], v[4:5], v[0:1]
	s_delay_alu instid0(VALU_DEP_1)
	v_add_f32_e32 v0, v0, v1
	global_store_b32 v[2:3], v0, off
.LBB11_28:
	s_endpgm
	.section	.rodata,"a",@progbits
	.p2align	6, 0x0
	.amdhsa_kernel _ZN9rocsparseL16sddmm_ell_kernelILi512ELi1EfiifffEEv20rocsparse_operation_S1_16rocsparse_order_S2_T3_S3_S3_T2_NS_24const_host_device_scalarIT1_EEPKT4_lPKT5_lS7_PT6_PKS3_21rocsparse_index_base_b
		.amdhsa_group_segment_fixed_size 2048
		.amdhsa_private_segment_fixed_size 0
		.amdhsa_kernarg_size 104
		.amdhsa_user_sgpr_count 2
		.amdhsa_user_sgpr_dispatch_ptr 0
		.amdhsa_user_sgpr_queue_ptr 0
		.amdhsa_user_sgpr_kernarg_segment_ptr 1
		.amdhsa_user_sgpr_dispatch_id 0
		.amdhsa_user_sgpr_kernarg_preload_length 0
		.amdhsa_user_sgpr_kernarg_preload_offset 0
		.amdhsa_user_sgpr_private_segment_size 0
		.amdhsa_wavefront_size32 1
		.amdhsa_uses_dynamic_stack 0
		.amdhsa_enable_private_segment 0
		.amdhsa_system_sgpr_workgroup_id_x 1
		.amdhsa_system_sgpr_workgroup_id_y 0
		.amdhsa_system_sgpr_workgroup_id_z 0
		.amdhsa_system_sgpr_workgroup_info 0
		.amdhsa_system_vgpr_workitem_id 0
		.amdhsa_next_free_vgpr 10
		.amdhsa_next_free_sgpr 20
		.amdhsa_named_barrier_count 0
		.amdhsa_reserve_vcc 1
		.amdhsa_float_round_mode_32 0
		.amdhsa_float_round_mode_16_64 0
		.amdhsa_float_denorm_mode_32 3
		.amdhsa_float_denorm_mode_16_64 3
		.amdhsa_fp16_overflow 0
		.amdhsa_memory_ordered 1
		.amdhsa_forward_progress 1
		.amdhsa_inst_pref_size 8
		.amdhsa_round_robin_scheduling 0
		.amdhsa_exception_fp_ieee_invalid_op 0
		.amdhsa_exception_fp_denorm_src 0
		.amdhsa_exception_fp_ieee_div_zero 0
		.amdhsa_exception_fp_ieee_overflow 0
		.amdhsa_exception_fp_ieee_underflow 0
		.amdhsa_exception_fp_ieee_inexact 0
		.amdhsa_exception_int_div_zero 0
	.end_amdhsa_kernel
	.section	.text._ZN9rocsparseL16sddmm_ell_kernelILi512ELi1EfiifffEEv20rocsparse_operation_S1_16rocsparse_order_S2_T3_S3_S3_T2_NS_24const_host_device_scalarIT1_EEPKT4_lPKT5_lS7_PT6_PKS3_21rocsparse_index_base_b,"axG",@progbits,_ZN9rocsparseL16sddmm_ell_kernelILi512ELi1EfiifffEEv20rocsparse_operation_S1_16rocsparse_order_S2_T3_S3_S3_T2_NS_24const_host_device_scalarIT1_EEPKT4_lPKT5_lS7_PT6_PKS3_21rocsparse_index_base_b,comdat
.Lfunc_end11:
	.size	_ZN9rocsparseL16sddmm_ell_kernelILi512ELi1EfiifffEEv20rocsparse_operation_S1_16rocsparse_order_S2_T3_S3_S3_T2_NS_24const_host_device_scalarIT1_EEPKT4_lPKT5_lS7_PT6_PKS3_21rocsparse_index_base_b, .Lfunc_end11-_ZN9rocsparseL16sddmm_ell_kernelILi512ELi1EfiifffEEv20rocsparse_operation_S1_16rocsparse_order_S2_T3_S3_S3_T2_NS_24const_host_device_scalarIT1_EEPKT4_lPKT5_lS7_PT6_PKS3_21rocsparse_index_base_b
                                        ; -- End function
	.set _ZN9rocsparseL16sddmm_ell_kernelILi512ELi1EfiifffEEv20rocsparse_operation_S1_16rocsparse_order_S2_T3_S3_S3_T2_NS_24const_host_device_scalarIT1_EEPKT4_lPKT5_lS7_PT6_PKS3_21rocsparse_index_base_b.num_vgpr, 10
	.set _ZN9rocsparseL16sddmm_ell_kernelILi512ELi1EfiifffEEv20rocsparse_operation_S1_16rocsparse_order_S2_T3_S3_S3_T2_NS_24const_host_device_scalarIT1_EEPKT4_lPKT5_lS7_PT6_PKS3_21rocsparse_index_base_b.num_agpr, 0
	.set _ZN9rocsparseL16sddmm_ell_kernelILi512ELi1EfiifffEEv20rocsparse_operation_S1_16rocsparse_order_S2_T3_S3_S3_T2_NS_24const_host_device_scalarIT1_EEPKT4_lPKT5_lS7_PT6_PKS3_21rocsparse_index_base_b.numbered_sgpr, 20
	.set _ZN9rocsparseL16sddmm_ell_kernelILi512ELi1EfiifffEEv20rocsparse_operation_S1_16rocsparse_order_S2_T3_S3_S3_T2_NS_24const_host_device_scalarIT1_EEPKT4_lPKT5_lS7_PT6_PKS3_21rocsparse_index_base_b.num_named_barrier, 0
	.set _ZN9rocsparseL16sddmm_ell_kernelILi512ELi1EfiifffEEv20rocsparse_operation_S1_16rocsparse_order_S2_T3_S3_S3_T2_NS_24const_host_device_scalarIT1_EEPKT4_lPKT5_lS7_PT6_PKS3_21rocsparse_index_base_b.private_seg_size, 0
	.set _ZN9rocsparseL16sddmm_ell_kernelILi512ELi1EfiifffEEv20rocsparse_operation_S1_16rocsparse_order_S2_T3_S3_S3_T2_NS_24const_host_device_scalarIT1_EEPKT4_lPKT5_lS7_PT6_PKS3_21rocsparse_index_base_b.uses_vcc, 1
	.set _ZN9rocsparseL16sddmm_ell_kernelILi512ELi1EfiifffEEv20rocsparse_operation_S1_16rocsparse_order_S2_T3_S3_S3_T2_NS_24const_host_device_scalarIT1_EEPKT4_lPKT5_lS7_PT6_PKS3_21rocsparse_index_base_b.uses_flat_scratch, 0
	.set _ZN9rocsparseL16sddmm_ell_kernelILi512ELi1EfiifffEEv20rocsparse_operation_S1_16rocsparse_order_S2_T3_S3_S3_T2_NS_24const_host_device_scalarIT1_EEPKT4_lPKT5_lS7_PT6_PKS3_21rocsparse_index_base_b.has_dyn_sized_stack, 0
	.set _ZN9rocsparseL16sddmm_ell_kernelILi512ELi1EfiifffEEv20rocsparse_operation_S1_16rocsparse_order_S2_T3_S3_S3_T2_NS_24const_host_device_scalarIT1_EEPKT4_lPKT5_lS7_PT6_PKS3_21rocsparse_index_base_b.has_recursion, 0
	.set _ZN9rocsparseL16sddmm_ell_kernelILi512ELi1EfiifffEEv20rocsparse_operation_S1_16rocsparse_order_S2_T3_S3_S3_T2_NS_24const_host_device_scalarIT1_EEPKT4_lPKT5_lS7_PT6_PKS3_21rocsparse_index_base_b.has_indirect_call, 0
	.section	.AMDGPU.csdata,"",@progbits
; Kernel info:
; codeLenInByte = 908
; TotalNumSgprs: 22
; NumVgprs: 10
; ScratchSize: 0
; MemoryBound: 0
; FloatMode: 240
; IeeeMode: 1
; LDSByteSize: 2048 bytes/workgroup (compile time only)
; SGPRBlocks: 0
; VGPRBlocks: 0
; NumSGPRsForWavesPerEU: 22
; NumVGPRsForWavesPerEU: 10
; NamedBarCnt: 0
; Occupancy: 16
; WaveLimiterHint : 0
; COMPUTE_PGM_RSRC2:SCRATCH_EN: 0
; COMPUTE_PGM_RSRC2:USER_SGPR: 2
; COMPUTE_PGM_RSRC2:TRAP_HANDLER: 0
; COMPUTE_PGM_RSRC2:TGID_X_EN: 1
; COMPUTE_PGM_RSRC2:TGID_Y_EN: 0
; COMPUTE_PGM_RSRC2:TGID_Z_EN: 0
; COMPUTE_PGM_RSRC2:TIDIG_COMP_CNT: 0
	.section	.text._ZN9rocsparseL23sddmm_ell_sample_kernelILi16ELi32EdidEEvT2_S1_PKT3_lS1_PS2_PKS1_21rocsparse_index_base_,"axG",@progbits,_ZN9rocsparseL23sddmm_ell_sample_kernelILi16ELi32EdidEEvT2_S1_PKT3_lS1_PS2_PKS1_21rocsparse_index_base_,comdat
	.globl	_ZN9rocsparseL23sddmm_ell_sample_kernelILi16ELi32EdidEEvT2_S1_PKT3_lS1_PS2_PKS1_21rocsparse_index_base_ ; -- Begin function _ZN9rocsparseL23sddmm_ell_sample_kernelILi16ELi32EdidEEvT2_S1_PKT3_lS1_PS2_PKS1_21rocsparse_index_base_
	.p2align	8
	.type	_ZN9rocsparseL23sddmm_ell_sample_kernelILi16ELi32EdidEEvT2_S1_PKT3_lS1_PS2_PKS1_21rocsparse_index_base_,@function
_ZN9rocsparseL23sddmm_ell_sample_kernelILi16ELi32EdidEEvT2_S1_PKT3_lS1_PS2_PKS1_21rocsparse_index_base_: ; @_ZN9rocsparseL23sddmm_ell_sample_kernelILi16ELi32EdidEEvT2_S1_PKT3_lS1_PS2_PKS1_21rocsparse_index_base_
; %bb.0:
	s_load_b32 s2, s[0:1], 0x18
	s_bfe_u32 s3, ttmp6, 0x4000c
	s_and_b32 s4, ttmp6, 15
	s_add_co_i32 s3, s3, 1
	s_getreg_b32 s5, hwreg(HW_REG_IB_STS2, 6, 4)
	s_mul_i32 s3, ttmp9, s3
	v_lshrrev_b32_e32 v1, 5, v0
	s_add_co_i32 s4, s4, s3
	s_cmp_eq_u32 s5, 0
	s_cselect_b32 s3, ttmp9, s4
	s_delay_alu instid0(VALU_DEP_1) | instid1(SALU_CYCLE_1)
	v_lshl_or_b32 v2, s3, 4, v1
	s_wait_kmcnt 0x0
	s_delay_alu instid0(VALU_DEP_1)
	v_cmp_gt_u32_e32 vcc_lo, s2, v2
	s_and_saveexec_b32 s2, vcc_lo
	s_cbranch_execz .LBB12_6
; %bb.1:
	s_load_b64 s[2:3], s[0:1], 0x0
	v_and_b32_e32 v4, 31, v0
	s_wait_kmcnt 0x0
	s_delay_alu instid0(VALU_DEP_1)
	v_cmp_gt_i32_e32 vcc_lo, s2, v4
	s_and_b32 exec_lo, exec_lo, vcc_lo
	s_cbranch_execz .LBB12_6
; %bb.2:
	s_clause 0x2
	s_load_b128 s[12:15], s[0:1], 0x8
	s_load_b128 s[4:7], s[0:1], 0x20
	s_load_b32 s10, s[0:1], 0x30
	v_dual_mov_b32 v1, 0 :: v_dual_bitop2_b32 v0, 31, v0 bitop3:0x40
	v_mul_lo_u32 v5, v2, s2
	s_wait_xcnt 0x0
	s_mov_b32 s1, 0
	s_delay_alu instid0(VALU_DEP_2) | instskip(SKIP_1) | instid1(VALU_DEP_1)
	v_lshlrev_b32_e32 v0, 3, v0
	s_wait_kmcnt 0x0
	v_add_nc_u64_e32 v[2:3], s[12:13], v[0:1]
	s_lshl_b64 s[8:9], s[14:15], 3
	s_branch .LBB12_4
.LBB12_3:                               ;   in Loop: Header=BB12_4 Depth=1
	s_wait_xcnt 0x0
	s_or_b32 exec_lo, exec_lo, s0
	v_add_nc_u32_e32 v4, 32, v4
	v_add_nc_u64_e32 v[2:3], 0x100, v[2:3]
	s_delay_alu instid0(VALU_DEP_2) | instskip(SKIP_1) | instid1(SALU_CYCLE_1)
	v_cmp_le_i32_e32 vcc_lo, s2, v4
	s_or_b32 s1, vcc_lo, s1
	s_and_not1_b32 exec_lo, exec_lo, s1
	s_cbranch_execz .LBB12_6
.LBB12_4:                               ; =>This Inner Loop Header: Depth=1
	s_delay_alu instid0(VALU_DEP_3) | instskip(SKIP_3) | instid1(VALU_DEP_1)
	v_add_nc_u32_e32 v0, v5, v4
	global_load_b32 v6, v0, s[6:7] scale_offset
	s_wait_loadcnt 0x0
	v_subrev_nc_u32_e32 v6, s10, v6
	v_cmp_lt_i32_e32 vcc_lo, -1, v6
	v_cmp_gt_i32_e64 s0, s3, v6
	s_and_b32 s11, vcc_lo, s0
	s_wait_xcnt 0x0
	s_and_saveexec_b32 s0, s11
	s_cbranch_execz .LBB12_3
; %bb.5:                                ;   in Loop: Header=BB12_4 Depth=1
	v_mad_nc_u64_u32 v[8:9], s8, v6, v[2:3]
	s_delay_alu instid0(VALU_DEP_1)
	v_mad_u32 v9, s9, v6, v9
	global_load_b64 v[6:7], v[8:9], off
	s_wait_xcnt 0x0
	v_lshl_add_u64 v[8:9], v[0:1], 3, s[4:5]
	s_wait_loadcnt 0x0
	global_store_b64 v[8:9], v[6:7], off
	s_branch .LBB12_3
.LBB12_6:
	s_endpgm
	.section	.rodata,"a",@progbits
	.p2align	6, 0x0
	.amdhsa_kernel _ZN9rocsparseL23sddmm_ell_sample_kernelILi16ELi32EdidEEvT2_S1_PKT3_lS1_PS2_PKS1_21rocsparse_index_base_
		.amdhsa_group_segment_fixed_size 0
		.amdhsa_private_segment_fixed_size 0
		.amdhsa_kernarg_size 52
		.amdhsa_user_sgpr_count 2
		.amdhsa_user_sgpr_dispatch_ptr 0
		.amdhsa_user_sgpr_queue_ptr 0
		.amdhsa_user_sgpr_kernarg_segment_ptr 1
		.amdhsa_user_sgpr_dispatch_id 0
		.amdhsa_user_sgpr_kernarg_preload_length 0
		.amdhsa_user_sgpr_kernarg_preload_offset 0
		.amdhsa_user_sgpr_private_segment_size 0
		.amdhsa_wavefront_size32 1
		.amdhsa_uses_dynamic_stack 0
		.amdhsa_enable_private_segment 0
		.amdhsa_system_sgpr_workgroup_id_x 1
		.amdhsa_system_sgpr_workgroup_id_y 0
		.amdhsa_system_sgpr_workgroup_id_z 0
		.amdhsa_system_sgpr_workgroup_info 0
		.amdhsa_system_vgpr_workitem_id 0
		.amdhsa_next_free_vgpr 10
		.amdhsa_next_free_sgpr 16
		.amdhsa_named_barrier_count 0
		.amdhsa_reserve_vcc 1
		.amdhsa_float_round_mode_32 0
		.amdhsa_float_round_mode_16_64 0
		.amdhsa_float_denorm_mode_32 3
		.amdhsa_float_denorm_mode_16_64 3
		.amdhsa_fp16_overflow 0
		.amdhsa_memory_ordered 1
		.amdhsa_forward_progress 1
		.amdhsa_inst_pref_size 3
		.amdhsa_round_robin_scheduling 0
		.amdhsa_exception_fp_ieee_invalid_op 0
		.amdhsa_exception_fp_denorm_src 0
		.amdhsa_exception_fp_ieee_div_zero 0
		.amdhsa_exception_fp_ieee_overflow 0
		.amdhsa_exception_fp_ieee_underflow 0
		.amdhsa_exception_fp_ieee_inexact 0
		.amdhsa_exception_int_div_zero 0
	.end_amdhsa_kernel
	.section	.text._ZN9rocsparseL23sddmm_ell_sample_kernelILi16ELi32EdidEEvT2_S1_PKT3_lS1_PS2_PKS1_21rocsparse_index_base_,"axG",@progbits,_ZN9rocsparseL23sddmm_ell_sample_kernelILi16ELi32EdidEEvT2_S1_PKT3_lS1_PS2_PKS1_21rocsparse_index_base_,comdat
.Lfunc_end12:
	.size	_ZN9rocsparseL23sddmm_ell_sample_kernelILi16ELi32EdidEEvT2_S1_PKT3_lS1_PS2_PKS1_21rocsparse_index_base_, .Lfunc_end12-_ZN9rocsparseL23sddmm_ell_sample_kernelILi16ELi32EdidEEvT2_S1_PKT3_lS1_PS2_PKS1_21rocsparse_index_base_
                                        ; -- End function
	.set _ZN9rocsparseL23sddmm_ell_sample_kernelILi16ELi32EdidEEvT2_S1_PKT3_lS1_PS2_PKS1_21rocsparse_index_base_.num_vgpr, 10
	.set _ZN9rocsparseL23sddmm_ell_sample_kernelILi16ELi32EdidEEvT2_S1_PKT3_lS1_PS2_PKS1_21rocsparse_index_base_.num_agpr, 0
	.set _ZN9rocsparseL23sddmm_ell_sample_kernelILi16ELi32EdidEEvT2_S1_PKT3_lS1_PS2_PKS1_21rocsparse_index_base_.numbered_sgpr, 16
	.set _ZN9rocsparseL23sddmm_ell_sample_kernelILi16ELi32EdidEEvT2_S1_PKT3_lS1_PS2_PKS1_21rocsparse_index_base_.num_named_barrier, 0
	.set _ZN9rocsparseL23sddmm_ell_sample_kernelILi16ELi32EdidEEvT2_S1_PKT3_lS1_PS2_PKS1_21rocsparse_index_base_.private_seg_size, 0
	.set _ZN9rocsparseL23sddmm_ell_sample_kernelILi16ELi32EdidEEvT2_S1_PKT3_lS1_PS2_PKS1_21rocsparse_index_base_.uses_vcc, 1
	.set _ZN9rocsparseL23sddmm_ell_sample_kernelILi16ELi32EdidEEvT2_S1_PKT3_lS1_PS2_PKS1_21rocsparse_index_base_.uses_flat_scratch, 0
	.set _ZN9rocsparseL23sddmm_ell_sample_kernelILi16ELi32EdidEEvT2_S1_PKT3_lS1_PS2_PKS1_21rocsparse_index_base_.has_dyn_sized_stack, 0
	.set _ZN9rocsparseL23sddmm_ell_sample_kernelILi16ELi32EdidEEvT2_S1_PKT3_lS1_PS2_PKS1_21rocsparse_index_base_.has_recursion, 0
	.set _ZN9rocsparseL23sddmm_ell_sample_kernelILi16ELi32EdidEEvT2_S1_PKT3_lS1_PS2_PKS1_21rocsparse_index_base_.has_indirect_call, 0
	.section	.AMDGPU.csdata,"",@progbits
; Kernel info:
; codeLenInByte = 356
; TotalNumSgprs: 18
; NumVgprs: 10
; ScratchSize: 0
; MemoryBound: 0
; FloatMode: 240
; IeeeMode: 1
; LDSByteSize: 0 bytes/workgroup (compile time only)
; SGPRBlocks: 0
; VGPRBlocks: 0
; NumSGPRsForWavesPerEU: 18
; NumVGPRsForWavesPerEU: 10
; NamedBarCnt: 0
; Occupancy: 16
; WaveLimiterHint : 1
; COMPUTE_PGM_RSRC2:SCRATCH_EN: 0
; COMPUTE_PGM_RSRC2:USER_SGPR: 2
; COMPUTE_PGM_RSRC2:TRAP_HANDLER: 0
; COMPUTE_PGM_RSRC2:TGID_X_EN: 1
; COMPUTE_PGM_RSRC2:TGID_Y_EN: 0
; COMPUTE_PGM_RSRC2:TGID_Z_EN: 0
; COMPUTE_PGM_RSRC2:TIDIG_COMP_CNT: 0
	.section	.text._ZN9rocsparseL23sddmm_ell_sample_kernelILi16ELi64EdidEEvT2_S1_PKT3_lS1_PS2_PKS1_21rocsparse_index_base_,"axG",@progbits,_ZN9rocsparseL23sddmm_ell_sample_kernelILi16ELi64EdidEEvT2_S1_PKT3_lS1_PS2_PKS1_21rocsparse_index_base_,comdat
	.globl	_ZN9rocsparseL23sddmm_ell_sample_kernelILi16ELi64EdidEEvT2_S1_PKT3_lS1_PS2_PKS1_21rocsparse_index_base_ ; -- Begin function _ZN9rocsparseL23sddmm_ell_sample_kernelILi16ELi64EdidEEvT2_S1_PKT3_lS1_PS2_PKS1_21rocsparse_index_base_
	.p2align	8
	.type	_ZN9rocsparseL23sddmm_ell_sample_kernelILi16ELi64EdidEEvT2_S1_PKT3_lS1_PS2_PKS1_21rocsparse_index_base_,@function
_ZN9rocsparseL23sddmm_ell_sample_kernelILi16ELi64EdidEEvT2_S1_PKT3_lS1_PS2_PKS1_21rocsparse_index_base_: ; @_ZN9rocsparseL23sddmm_ell_sample_kernelILi16ELi64EdidEEvT2_S1_PKT3_lS1_PS2_PKS1_21rocsparse_index_base_
; %bb.0:
	s_load_b32 s2, s[0:1], 0x18
	s_bfe_u32 s3, ttmp6, 0x4000c
	s_and_b32 s4, ttmp6, 15
	s_add_co_i32 s3, s3, 1
	s_getreg_b32 s5, hwreg(HW_REG_IB_STS2, 6, 4)
	s_mul_i32 s3, ttmp9, s3
	v_lshrrev_b32_e32 v1, 6, v0
	s_add_co_i32 s4, s4, s3
	s_cmp_eq_u32 s5, 0
	s_cselect_b32 s3, ttmp9, s4
	s_delay_alu instid0(VALU_DEP_1) | instid1(SALU_CYCLE_1)
	v_lshl_or_b32 v2, s3, 4, v1
	s_wait_kmcnt 0x0
	s_delay_alu instid0(VALU_DEP_1)
	v_cmp_gt_u32_e32 vcc_lo, s2, v2
	s_and_saveexec_b32 s2, vcc_lo
	s_cbranch_execz .LBB13_6
; %bb.1:
	s_load_b64 s[2:3], s[0:1], 0x0
	v_and_b32_e32 v4, 63, v0
	s_wait_kmcnt 0x0
	s_delay_alu instid0(VALU_DEP_1)
	v_cmp_gt_i32_e32 vcc_lo, s2, v4
	s_and_b32 exec_lo, exec_lo, vcc_lo
	s_cbranch_execz .LBB13_6
; %bb.2:
	s_clause 0x2
	s_load_b128 s[12:15], s[0:1], 0x8
	s_load_b128 s[4:7], s[0:1], 0x20
	s_load_b32 s10, s[0:1], 0x30
	v_dual_mov_b32 v1, 0 :: v_dual_bitop2_b32 v0, 63, v0 bitop3:0x40
	v_mul_lo_u32 v5, v2, s2
	s_wait_xcnt 0x0
	s_mov_b32 s1, 0
	s_delay_alu instid0(VALU_DEP_2) | instskip(SKIP_1) | instid1(VALU_DEP_1)
	v_lshlrev_b32_e32 v0, 3, v0
	s_wait_kmcnt 0x0
	v_add_nc_u64_e32 v[2:3], s[12:13], v[0:1]
	s_lshl_b64 s[8:9], s[14:15], 3
	s_branch .LBB13_4
.LBB13_3:                               ;   in Loop: Header=BB13_4 Depth=1
	s_wait_xcnt 0x0
	s_or_b32 exec_lo, exec_lo, s0
	v_add_nc_u32_e32 v4, 64, v4
	v_add_nc_u64_e32 v[2:3], 0x200, v[2:3]
	s_delay_alu instid0(VALU_DEP_2) | instskip(SKIP_1) | instid1(SALU_CYCLE_1)
	v_cmp_le_i32_e32 vcc_lo, s2, v4
	s_or_b32 s1, vcc_lo, s1
	s_and_not1_b32 exec_lo, exec_lo, s1
	s_cbranch_execz .LBB13_6
.LBB13_4:                               ; =>This Inner Loop Header: Depth=1
	s_delay_alu instid0(VALU_DEP_3) | instskip(SKIP_3) | instid1(VALU_DEP_1)
	v_add_nc_u32_e32 v0, v5, v4
	global_load_b32 v6, v0, s[6:7] scale_offset
	s_wait_loadcnt 0x0
	v_subrev_nc_u32_e32 v6, s10, v6
	v_cmp_lt_i32_e32 vcc_lo, -1, v6
	v_cmp_gt_i32_e64 s0, s3, v6
	s_and_b32 s11, vcc_lo, s0
	s_wait_xcnt 0x0
	s_and_saveexec_b32 s0, s11
	s_cbranch_execz .LBB13_3
; %bb.5:                                ;   in Loop: Header=BB13_4 Depth=1
	v_mad_nc_u64_u32 v[8:9], s8, v6, v[2:3]
	s_delay_alu instid0(VALU_DEP_1)
	v_mad_u32 v9, s9, v6, v9
	global_load_b64 v[6:7], v[8:9], off
	s_wait_xcnt 0x0
	v_lshl_add_u64 v[8:9], v[0:1], 3, s[4:5]
	s_wait_loadcnt 0x0
	global_store_b64 v[8:9], v[6:7], off
	s_branch .LBB13_3
.LBB13_6:
	s_endpgm
	.section	.rodata,"a",@progbits
	.p2align	6, 0x0
	.amdhsa_kernel _ZN9rocsparseL23sddmm_ell_sample_kernelILi16ELi64EdidEEvT2_S1_PKT3_lS1_PS2_PKS1_21rocsparse_index_base_
		.amdhsa_group_segment_fixed_size 0
		.amdhsa_private_segment_fixed_size 0
		.amdhsa_kernarg_size 52
		.amdhsa_user_sgpr_count 2
		.amdhsa_user_sgpr_dispatch_ptr 0
		.amdhsa_user_sgpr_queue_ptr 0
		.amdhsa_user_sgpr_kernarg_segment_ptr 1
		.amdhsa_user_sgpr_dispatch_id 0
		.amdhsa_user_sgpr_kernarg_preload_length 0
		.amdhsa_user_sgpr_kernarg_preload_offset 0
		.amdhsa_user_sgpr_private_segment_size 0
		.amdhsa_wavefront_size32 1
		.amdhsa_uses_dynamic_stack 0
		.amdhsa_enable_private_segment 0
		.amdhsa_system_sgpr_workgroup_id_x 1
		.amdhsa_system_sgpr_workgroup_id_y 0
		.amdhsa_system_sgpr_workgroup_id_z 0
		.amdhsa_system_sgpr_workgroup_info 0
		.amdhsa_system_vgpr_workitem_id 0
		.amdhsa_next_free_vgpr 10
		.amdhsa_next_free_sgpr 16
		.amdhsa_named_barrier_count 0
		.amdhsa_reserve_vcc 1
		.amdhsa_float_round_mode_32 0
		.amdhsa_float_round_mode_16_64 0
		.amdhsa_float_denorm_mode_32 3
		.amdhsa_float_denorm_mode_16_64 3
		.amdhsa_fp16_overflow 0
		.amdhsa_memory_ordered 1
		.amdhsa_forward_progress 1
		.amdhsa_inst_pref_size 3
		.amdhsa_round_robin_scheduling 0
		.amdhsa_exception_fp_ieee_invalid_op 0
		.amdhsa_exception_fp_denorm_src 0
		.amdhsa_exception_fp_ieee_div_zero 0
		.amdhsa_exception_fp_ieee_overflow 0
		.amdhsa_exception_fp_ieee_underflow 0
		.amdhsa_exception_fp_ieee_inexact 0
		.amdhsa_exception_int_div_zero 0
	.end_amdhsa_kernel
	.section	.text._ZN9rocsparseL23sddmm_ell_sample_kernelILi16ELi64EdidEEvT2_S1_PKT3_lS1_PS2_PKS1_21rocsparse_index_base_,"axG",@progbits,_ZN9rocsparseL23sddmm_ell_sample_kernelILi16ELi64EdidEEvT2_S1_PKT3_lS1_PS2_PKS1_21rocsparse_index_base_,comdat
.Lfunc_end13:
	.size	_ZN9rocsparseL23sddmm_ell_sample_kernelILi16ELi64EdidEEvT2_S1_PKT3_lS1_PS2_PKS1_21rocsparse_index_base_, .Lfunc_end13-_ZN9rocsparseL23sddmm_ell_sample_kernelILi16ELi64EdidEEvT2_S1_PKT3_lS1_PS2_PKS1_21rocsparse_index_base_
                                        ; -- End function
	.set _ZN9rocsparseL23sddmm_ell_sample_kernelILi16ELi64EdidEEvT2_S1_PKT3_lS1_PS2_PKS1_21rocsparse_index_base_.num_vgpr, 10
	.set _ZN9rocsparseL23sddmm_ell_sample_kernelILi16ELi64EdidEEvT2_S1_PKT3_lS1_PS2_PKS1_21rocsparse_index_base_.num_agpr, 0
	.set _ZN9rocsparseL23sddmm_ell_sample_kernelILi16ELi64EdidEEvT2_S1_PKT3_lS1_PS2_PKS1_21rocsparse_index_base_.numbered_sgpr, 16
	.set _ZN9rocsparseL23sddmm_ell_sample_kernelILi16ELi64EdidEEvT2_S1_PKT3_lS1_PS2_PKS1_21rocsparse_index_base_.num_named_barrier, 0
	.set _ZN9rocsparseL23sddmm_ell_sample_kernelILi16ELi64EdidEEvT2_S1_PKT3_lS1_PS2_PKS1_21rocsparse_index_base_.private_seg_size, 0
	.set _ZN9rocsparseL23sddmm_ell_sample_kernelILi16ELi64EdidEEvT2_S1_PKT3_lS1_PS2_PKS1_21rocsparse_index_base_.uses_vcc, 1
	.set _ZN9rocsparseL23sddmm_ell_sample_kernelILi16ELi64EdidEEvT2_S1_PKT3_lS1_PS2_PKS1_21rocsparse_index_base_.uses_flat_scratch, 0
	.set _ZN9rocsparseL23sddmm_ell_sample_kernelILi16ELi64EdidEEvT2_S1_PKT3_lS1_PS2_PKS1_21rocsparse_index_base_.has_dyn_sized_stack, 0
	.set _ZN9rocsparseL23sddmm_ell_sample_kernelILi16ELi64EdidEEvT2_S1_PKT3_lS1_PS2_PKS1_21rocsparse_index_base_.has_recursion, 0
	.set _ZN9rocsparseL23sddmm_ell_sample_kernelILi16ELi64EdidEEvT2_S1_PKT3_lS1_PS2_PKS1_21rocsparse_index_base_.has_indirect_call, 0
	.section	.AMDGPU.csdata,"",@progbits
; Kernel info:
; codeLenInByte = 356
; TotalNumSgprs: 18
; NumVgprs: 10
; ScratchSize: 0
; MemoryBound: 0
; FloatMode: 240
; IeeeMode: 1
; LDSByteSize: 0 bytes/workgroup (compile time only)
; SGPRBlocks: 0
; VGPRBlocks: 0
; NumSGPRsForWavesPerEU: 18
; NumVGPRsForWavesPerEU: 10
; NamedBarCnt: 0
; Occupancy: 16
; WaveLimiterHint : 1
; COMPUTE_PGM_RSRC2:SCRATCH_EN: 0
; COMPUTE_PGM_RSRC2:USER_SGPR: 2
; COMPUTE_PGM_RSRC2:TRAP_HANDLER: 0
; COMPUTE_PGM_RSRC2:TGID_X_EN: 1
; COMPUTE_PGM_RSRC2:TGID_Y_EN: 0
; COMPUTE_PGM_RSRC2:TGID_Z_EN: 0
; COMPUTE_PGM_RSRC2:TIDIG_COMP_CNT: 0
	.section	.text._ZN9rocsparseL16sddmm_ell_kernelILi512ELi8EdiidddEEv20rocsparse_operation_S1_16rocsparse_order_S2_T3_S3_S3_T2_NS_24const_host_device_scalarIT1_EEPKT4_lPKT5_lS7_PT6_PKS3_21rocsparse_index_base_b,"axG",@progbits,_ZN9rocsparseL16sddmm_ell_kernelILi512ELi8EdiidddEEv20rocsparse_operation_S1_16rocsparse_order_S2_T3_S3_S3_T2_NS_24const_host_device_scalarIT1_EEPKT4_lPKT5_lS7_PT6_PKS3_21rocsparse_index_base_b,comdat
	.globl	_ZN9rocsparseL16sddmm_ell_kernelILi512ELi8EdiidddEEv20rocsparse_operation_S1_16rocsparse_order_S2_T3_S3_S3_T2_NS_24const_host_device_scalarIT1_EEPKT4_lPKT5_lS7_PT6_PKS3_21rocsparse_index_base_b ; -- Begin function _ZN9rocsparseL16sddmm_ell_kernelILi512ELi8EdiidddEEv20rocsparse_operation_S1_16rocsparse_order_S2_T3_S3_S3_T2_NS_24const_host_device_scalarIT1_EEPKT4_lPKT5_lS7_PT6_PKS3_21rocsparse_index_base_b
	.p2align	8
	.type	_ZN9rocsparseL16sddmm_ell_kernelILi512ELi8EdiidddEEv20rocsparse_operation_S1_16rocsparse_order_S2_T3_S3_S3_T2_NS_24const_host_device_scalarIT1_EEPKT4_lPKT5_lS7_PT6_PKS3_21rocsparse_index_base_b,@function
_ZN9rocsparseL16sddmm_ell_kernelILi512ELi8EdiidddEEv20rocsparse_operation_S1_16rocsparse_order_S2_T3_S3_S3_T2_NS_24const_host_device_scalarIT1_EEPKT4_lPKT5_lS7_PT6_PKS3_21rocsparse_index_base_b: ; @_ZN9rocsparseL16sddmm_ell_kernelILi512ELi8EdiidddEEv20rocsparse_operation_S1_16rocsparse_order_S2_T3_S3_S3_T2_NS_24const_host_device_scalarIT1_EEPKT4_lPKT5_lS7_PT6_PKS3_21rocsparse_index_base_b
; %bb.0:
	s_clause 0x2
	s_load_b64 s[8:9], s[0:1], 0x60
	s_load_b64 s[2:3], s[0:1], 0x20
	s_load_b128 s[4:7], s[0:1], 0x40
	s_wait_kmcnt 0x0
	s_bitcmp1_b32 s9, 0
	v_mov_b64_e32 v[2:3], s[2:3]
	s_cselect_b32 s9, -1, 0
	s_delay_alu instid0(SALU_CYCLE_1)
	s_and_b32 vcc_lo, exec_lo, s9
	s_xor_b32 s9, s9, -1
	s_cbranch_vccnz .LBB14_2
; %bb.1:
	v_mov_b32_e32 v1, 0
	flat_load_b64 v[2:3], v1, s[2:3]
.LBB14_2:
	v_mov_b64_e32 v[4:5], s[6:7]
	s_and_not1_b32 vcc_lo, exec_lo, s9
	s_cbranch_vccnz .LBB14_4
; %bb.3:
	s_wait_xcnt 0x0
	v_mov_b32_e32 v1, 0
	flat_load_b64 v[4:5], v1, s[6:7]
.LBB14_4:
	s_wait_loadcnt_dscnt 0x0
	v_cmp_neq_f64_e32 vcc_lo, 0, v[2:3]
	s_delay_alu instid0(VALU_DEP_2) | instskip(SKIP_1) | instid1(SALU_CYCLE_1)
	v_cmp_neq_f64_e64 s2, 1.0, v[4:5]
	s_or_b32 s2, vcc_lo, s2
	s_and_saveexec_b32 s3, s2
	s_cbranch_execz .LBB14_35
; %bb.5:
	s_load_b64 s[2:3], s[0:1], 0x18
	s_bfe_u32 s6, ttmp6, 0x4000c
	s_and_b32 s7, ttmp6, 15
	s_add_co_i32 s6, s6, 1
	s_getreg_b32 s9, hwreg(HW_REG_IB_STS2, 6, 4)
	s_mul_i32 s6, ttmp9, s6
	v_lshrrev_b32_e32 v14, 3, v0
	s_add_co_i32 s7, s7, s6
	s_cmp_eq_u32 s9, 0
	s_cselect_b32 s6, ttmp9, s7
	s_delay_alu instid0(VALU_DEP_1) | instid1(SALU_CYCLE_1)
	v_lshl_or_b32 v6, s6, 6, v14
	s_wait_kmcnt 0x0
	s_delay_alu instid0(VALU_DEP_1)
	v_cmp_gt_i32_e32 vcc_lo, s3, v6
	s_and_b32 exec_lo, exec_lo, vcc_lo
	s_cbranch_execz .LBB14_35
; %bb.6:
	s_load_b64 s[6:7], s[0:1], 0x58
	s_mov_b32 s13, -1
	s_wait_kmcnt 0x0
	global_load_b32 v1, v6, s[6:7] scale_offset
	s_wait_loadcnt 0x0
	v_subrev_nc_u32_e32 v8, s8, v1
	s_delay_alu instid0(VALU_DEP_1)
	v_cmp_lt_i32_e32 vcc_lo, -1, v8
	s_and_b32 exec_lo, exec_lo, vcc_lo
	s_cbranch_execz .LBB14_35
; %bb.7:
	s_clause 0x1
	s_load_b128 s[8:11], s[0:1], 0x0
	s_load_b32 s6, s[0:1], 0x10
                                        ; implicit-def: $vgpr10_vgpr11
	s_wait_kmcnt 0x0
	s_cmp_eq_u32 s10, 1
	s_cselect_b32 s3, -1, 0
	s_cmp_eq_u32 s8, 0x6f
	s_cselect_b32 s12, -1, 0
	s_cmp_lg_u32 s8, 0x6f
	s_cselect_b32 s8, -1, 0
	s_abs_i32 s14, s6
	s_delay_alu instid0(SALU_CYCLE_1) | instskip(SKIP_1) | instid1(SALU_CYCLE_2)
	s_cvt_f32_u32 s6, s14
	s_sub_co_i32 s7, 0, s14
	v_rcp_iflag_f32_e32 v1, s6
	v_nop
	s_delay_alu instid0(TRANS32_DEP_1) | instskip(SKIP_2) | instid1(VALU_DEP_1)
	v_readfirstlane_b32 s6, v1
	v_sub_nc_u32_e32 v1, 0, v6
	s_mul_f32 s6, s6, 0x4f7ffffe
	v_max_i32_e32 v1, v6, v1
	s_delay_alu instid0(SALU_CYCLE_2) | instskip(NEXT) | instid1(SALU_CYCLE_3)
	s_cvt_u32_f32 s6, s6
	s_mul_i32 s7, s7, s6
	s_delay_alu instid0(SALU_CYCLE_1) | instskip(NEXT) | instid1(SALU_CYCLE_1)
	s_mul_hi_u32 s7, s6, s7
	s_add_co_i32 s6, s6, s7
	s_cmp_lg_u32 s10, 1
	v_mul_hi_u32 v7, v1, s6
	s_load_b64 s[6:7], s[0:1], 0x30
	s_delay_alu instid0(VALU_DEP_1) | instskip(NEXT) | instid1(VALU_DEP_1)
	v_mul_lo_u32 v7, v7, s14
	v_sub_nc_u32_e32 v1, v1, v7
	s_delay_alu instid0(VALU_DEP_1) | instskip(SKIP_1) | instid1(VALU_DEP_2)
	v_subrev_nc_u32_e32 v7, s14, v1
	v_cmp_le_u32_e32 vcc_lo, s14, v1
	v_dual_cndmask_b32 v1, v1, v7, vcc_lo :: v_dual_ashrrev_i32 v7, 31, v6
	s_delay_alu instid0(VALU_DEP_1) | instskip(SKIP_1) | instid1(VALU_DEP_2)
	v_subrev_nc_u32_e32 v9, s14, v1
	v_cmp_le_u32_e32 vcc_lo, s14, v1
	v_cndmask_b32_e32 v1, v1, v9, vcc_lo
	s_delay_alu instid0(VALU_DEP_1) | instskip(NEXT) | instid1(VALU_DEP_1)
	v_xor_b32_e32 v1, v1, v7
	v_sub_nc_u32_e32 v12, v1, v7
	s_delay_alu instid0(VALU_DEP_1)
	v_ashrrev_i32_e32 v13, 31, v12
	s_cbranch_scc0 .LBB14_11
; %bb.8:
	s_delay_alu instid0(VALU_DEP_1)
	v_mov_b64_e32 v[10:11], v[12:13]
	s_and_not1_b32 vcc_lo, exec_lo, s12
	s_cbranch_vccnz .LBB14_10
; %bb.9:
	s_wait_kmcnt 0x0
	v_mul_u64_e32 v[10:11], s[6:7], v[12:13]
.LBB14_10:
	s_mov_b32 s13, 0
.LBB14_11:
	s_delay_alu instid0(SALU_CYCLE_1)
	s_and_not1_b32 vcc_lo, exec_lo, s13
	s_cbranch_vccnz .LBB14_15
; %bb.12:
	s_and_not1_b32 vcc_lo, exec_lo, s8
	s_cbranch_vccnz .LBB14_14
; %bb.13:
	s_wait_kmcnt 0x0
	v_mul_u64_e32 v[12:13], s[6:7], v[12:13]
.LBB14_14:
	s_delay_alu instid0(VALU_DEP_1)
	v_mov_b64_e32 v[10:11], v[12:13]
.LBB14_15:
	s_cmp_eq_u32 s11, 1
	v_mov_b32_e32 v9, 0
	s_cselect_b32 s10, -1, 0
	s_cmp_eq_u32 s9, 0x6f
	s_cselect_b32 s13, -1, 0
	s_cmp_lg_u32 s9, 0x6f
	s_cselect_b32 s8, -1, 0
	s_cmp_lg_u32 s11, 1
	s_cbranch_scc0 .LBB14_19
; %bb.16:
	v_mov_b64_e32 v[12:13], v[8:9]
	s_and_not1_b32 vcc_lo, exec_lo, s8
	s_cbranch_vccnz .LBB14_18
; %bb.17:
	v_mul_u64_e32 v[12:13], s[4:5], v[8:9]
.LBB14_18:
	s_cbranch_execz .LBB14_20
	s_branch .LBB14_23
.LBB14_19:
                                        ; implicit-def: $vgpr12_vgpr13
.LBB14_20:
	s_and_not1_b32 vcc_lo, exec_lo, s13
	s_cbranch_vccnz .LBB14_22
; %bb.21:
	v_mul_u64_e32 v[8:9], s[4:5], v[8:9]
.LBB14_22:
	s_delay_alu instid0(VALU_DEP_1)
	v_mov_b64_e32 v[12:13], v[8:9]
.LBB14_23:
	v_mov_b64_e32 v[8:9], 0
	v_and_b32_e32 v15, 7, v0
	s_mov_b32 s8, exec_lo
	s_delay_alu instid0(VALU_DEP_1)
	v_cmpx_gt_i32_e64 s2, v15
	s_cbranch_execz .LBB14_27
; %bb.24:
	s_xor_b32 s3, s12, s3
	v_dual_mov_b32 v1, 0 :: v_dual_bitop2_b32 v0, 7, v0 bitop3:0x40
	s_and_b32 s3, s3, exec_lo
	s_wait_kmcnt 0x0
	s_cselect_b32 s7, 0, s7
	s_cselect_b32 s6, 1, s6
	s_xor_b32 s3, s13, s10
	v_mul_u64_e32 v[8:9], s[6:7], v[0:1]
	s_and_b32 s3, s3, exec_lo
	s_cselect_b32 s11, s5, 0
	s_cselect_b32 s10, s4, 1
	s_clause 0x1
	s_load_b64 s[4:5], s[0:1], 0x28
	s_load_b64 s[12:13], s[0:1], 0x38
	v_mul_u64_e32 v[0:1], s[10:11], v[0:1]
	v_lshlrev_b64_e32 v[10:11], 3, v[10:11]
	v_lshlrev_b64_e32 v[12:13], 3, v[12:13]
	s_mov_b32 s3, 0
	s_delay_alu instid0(VALU_DEP_2) | instskip(NEXT) | instid1(VALU_DEP_2)
	v_lshl_add_u64 v[8:9], v[8:9], 3, v[10:11]
	v_lshl_add_u64 v[10:11], v[0:1], 3, v[12:13]
	s_wait_kmcnt 0x0
	s_delay_alu instid0(VALU_DEP_2)
	v_add_nc_u64_e32 v[0:1], s[4:5], v[8:9]
	v_mov_b64_e32 v[8:9], 0
	v_mov_b32_e32 v12, v15
	s_lshl_b64 s[4:5], s[6:7], 6
	v_add_nc_u64_e32 v[10:11], s[12:13], v[10:11]
	s_lshl_b64 s[6:7], s[10:11], 6
.LBB14_25:                              ; =>This Inner Loop Header: Depth=1
	global_load_b64 v[16:17], v[0:1], off
	global_load_b64 v[18:19], v[10:11], off
	v_add_nc_u32_e32 v12, 8, v12
	s_wait_xcnt 0x1
	v_add_nc_u64_e32 v[0:1], s[4:5], v[0:1]
	s_wait_xcnt 0x0
	v_add_nc_u64_e32 v[10:11], s[6:7], v[10:11]
	v_cmp_le_i32_e32 vcc_lo, s2, v12
	s_or_b32 s3, vcc_lo, s3
	s_wait_loadcnt 0x0
	v_fmac_f64_e32 v[8:9], v[16:17], v[18:19]
	s_and_not1_b32 exec_lo, exec_lo, s3
	s_cbranch_execnz .LBB14_25
; %bb.26:
	s_or_b32 exec_lo, exec_lo, s3
.LBB14_27:
	s_delay_alu instid0(SALU_CYCLE_1) | instskip(SKIP_4) | instid1(VALU_DEP_1)
	s_or_b32 exec_lo, exec_lo, s8
	s_wait_xcnt 0x0
	s_load_b64 s[0:1], s[0:1], 0x50
	v_lshlrev_b32_e32 v0, 6, v14
	s_mov_b32 s2, exec_lo
	v_lshl_or_b32 v1, v15, 3, v0
	ds_store_b64 v1, v[8:9]
	s_wait_dscnt 0x0
	s_barrier_signal -1
	s_barrier_wait -1
	v_cmpx_gt_u32_e32 4, v15
	s_cbranch_execz .LBB14_29
; %bb.28:
	ds_load_2addr_b64 v[8:11], v1 offset1:4
	s_wait_dscnt 0x0
	v_add_f64_e32 v[8:9], v[10:11], v[8:9]
	ds_store_b64 v1, v[8:9]
.LBB14_29:
	s_or_b32 exec_lo, exec_lo, s2
	s_delay_alu instid0(SALU_CYCLE_1)
	s_mov_b32 s2, exec_lo
	s_wait_dscnt 0x0
	s_barrier_signal -1
	s_barrier_wait -1
	v_cmpx_gt_u32_e32 2, v15
	s_cbranch_execz .LBB14_31
; %bb.30:
	ds_load_2addr_b64 v[8:11], v1 offset1:2
	s_wait_dscnt 0x0
	v_add_f64_e32 v[8:9], v[10:11], v[8:9]
	ds_store_b64 v1, v[8:9]
.LBB14_31:
	s_or_b32 exec_lo, exec_lo, s2
	v_cmp_eq_u32_e32 vcc_lo, 0, v15
	s_wait_dscnt 0x0
	s_barrier_signal -1
	s_barrier_wait -1
	s_and_saveexec_b32 s2, vcc_lo
	s_cbranch_execz .LBB14_33
; %bb.32:
	ds_load_2addr_b64 v[8:11], v1 offset1:1
	s_wait_dscnt 0x0
	v_add_f64_e32 v[8:9], v[10:11], v[8:9]
	ds_store_b64 v1, v[8:9]
.LBB14_33:
	s_or_b32 exec_lo, exec_lo, s2
	s_wait_dscnt 0x0
	s_barrier_signal -1
	s_barrier_wait -1
	s_and_b32 exec_lo, exec_lo, vcc_lo
	s_cbranch_execz .LBB14_35
; %bb.34:
	s_wait_kmcnt 0x0
	v_lshl_add_u64 v[6:7], v[6:7], 3, s[0:1]
	ds_load_b64 v[0:1], v0
	global_load_b64 v[8:9], v[6:7], off
	s_wait_dscnt 0x0
	v_mul_f64_e32 v[0:1], v[2:3], v[0:1]
	s_wait_loadcnt 0x0
	s_delay_alu instid0(VALU_DEP_1)
	v_fmac_f64_e32 v[0:1], v[4:5], v[8:9]
	global_store_b64 v[6:7], v[0:1], off
.LBB14_35:
	s_endpgm
	.section	.rodata,"a",@progbits
	.p2align	6, 0x0
	.amdhsa_kernel _ZN9rocsparseL16sddmm_ell_kernelILi512ELi8EdiidddEEv20rocsparse_operation_S1_16rocsparse_order_S2_T3_S3_S3_T2_NS_24const_host_device_scalarIT1_EEPKT4_lPKT5_lS7_PT6_PKS3_21rocsparse_index_base_b
		.amdhsa_group_segment_fixed_size 4096
		.amdhsa_private_segment_fixed_size 0
		.amdhsa_kernarg_size 104
		.amdhsa_user_sgpr_count 2
		.amdhsa_user_sgpr_dispatch_ptr 0
		.amdhsa_user_sgpr_queue_ptr 0
		.amdhsa_user_sgpr_kernarg_segment_ptr 1
		.amdhsa_user_sgpr_dispatch_id 0
		.amdhsa_user_sgpr_kernarg_preload_length 0
		.amdhsa_user_sgpr_kernarg_preload_offset 0
		.amdhsa_user_sgpr_private_segment_size 0
		.amdhsa_wavefront_size32 1
		.amdhsa_uses_dynamic_stack 0
		.amdhsa_enable_private_segment 0
		.amdhsa_system_sgpr_workgroup_id_x 1
		.amdhsa_system_sgpr_workgroup_id_y 0
		.amdhsa_system_sgpr_workgroup_id_z 0
		.amdhsa_system_sgpr_workgroup_info 0
		.amdhsa_system_vgpr_workitem_id 0
		.amdhsa_next_free_vgpr 20
		.amdhsa_next_free_sgpr 15
		.amdhsa_named_barrier_count 0
		.amdhsa_reserve_vcc 1
		.amdhsa_float_round_mode_32 0
		.amdhsa_float_round_mode_16_64 0
		.amdhsa_float_denorm_mode_32 3
		.amdhsa_float_denorm_mode_16_64 3
		.amdhsa_fp16_overflow 0
		.amdhsa_memory_ordered 1
		.amdhsa_forward_progress 1
		.amdhsa_inst_pref_size 10
		.amdhsa_round_robin_scheduling 0
		.amdhsa_exception_fp_ieee_invalid_op 0
		.amdhsa_exception_fp_denorm_src 0
		.amdhsa_exception_fp_ieee_div_zero 0
		.amdhsa_exception_fp_ieee_overflow 0
		.amdhsa_exception_fp_ieee_underflow 0
		.amdhsa_exception_fp_ieee_inexact 0
		.amdhsa_exception_int_div_zero 0
	.end_amdhsa_kernel
	.section	.text._ZN9rocsparseL16sddmm_ell_kernelILi512ELi8EdiidddEEv20rocsparse_operation_S1_16rocsparse_order_S2_T3_S3_S3_T2_NS_24const_host_device_scalarIT1_EEPKT4_lPKT5_lS7_PT6_PKS3_21rocsparse_index_base_b,"axG",@progbits,_ZN9rocsparseL16sddmm_ell_kernelILi512ELi8EdiidddEEv20rocsparse_operation_S1_16rocsparse_order_S2_T3_S3_S3_T2_NS_24const_host_device_scalarIT1_EEPKT4_lPKT5_lS7_PT6_PKS3_21rocsparse_index_base_b,comdat
.Lfunc_end14:
	.size	_ZN9rocsparseL16sddmm_ell_kernelILi512ELi8EdiidddEEv20rocsparse_operation_S1_16rocsparse_order_S2_T3_S3_S3_T2_NS_24const_host_device_scalarIT1_EEPKT4_lPKT5_lS7_PT6_PKS3_21rocsparse_index_base_b, .Lfunc_end14-_ZN9rocsparseL16sddmm_ell_kernelILi512ELi8EdiidddEEv20rocsparse_operation_S1_16rocsparse_order_S2_T3_S3_S3_T2_NS_24const_host_device_scalarIT1_EEPKT4_lPKT5_lS7_PT6_PKS3_21rocsparse_index_base_b
                                        ; -- End function
	.set _ZN9rocsparseL16sddmm_ell_kernelILi512ELi8EdiidddEEv20rocsparse_operation_S1_16rocsparse_order_S2_T3_S3_S3_T2_NS_24const_host_device_scalarIT1_EEPKT4_lPKT5_lS7_PT6_PKS3_21rocsparse_index_base_b.num_vgpr, 20
	.set _ZN9rocsparseL16sddmm_ell_kernelILi512ELi8EdiidddEEv20rocsparse_operation_S1_16rocsparse_order_S2_T3_S3_S3_T2_NS_24const_host_device_scalarIT1_EEPKT4_lPKT5_lS7_PT6_PKS3_21rocsparse_index_base_b.num_agpr, 0
	.set _ZN9rocsparseL16sddmm_ell_kernelILi512ELi8EdiidddEEv20rocsparse_operation_S1_16rocsparse_order_S2_T3_S3_S3_T2_NS_24const_host_device_scalarIT1_EEPKT4_lPKT5_lS7_PT6_PKS3_21rocsparse_index_base_b.numbered_sgpr, 15
	.set _ZN9rocsparseL16sddmm_ell_kernelILi512ELi8EdiidddEEv20rocsparse_operation_S1_16rocsparse_order_S2_T3_S3_S3_T2_NS_24const_host_device_scalarIT1_EEPKT4_lPKT5_lS7_PT6_PKS3_21rocsparse_index_base_b.num_named_barrier, 0
	.set _ZN9rocsparseL16sddmm_ell_kernelILi512ELi8EdiidddEEv20rocsparse_operation_S1_16rocsparse_order_S2_T3_S3_S3_T2_NS_24const_host_device_scalarIT1_EEPKT4_lPKT5_lS7_PT6_PKS3_21rocsparse_index_base_b.private_seg_size, 0
	.set _ZN9rocsparseL16sddmm_ell_kernelILi512ELi8EdiidddEEv20rocsparse_operation_S1_16rocsparse_order_S2_T3_S3_S3_T2_NS_24const_host_device_scalarIT1_EEPKT4_lPKT5_lS7_PT6_PKS3_21rocsparse_index_base_b.uses_vcc, 1
	.set _ZN9rocsparseL16sddmm_ell_kernelILi512ELi8EdiidddEEv20rocsparse_operation_S1_16rocsparse_order_S2_T3_S3_S3_T2_NS_24const_host_device_scalarIT1_EEPKT4_lPKT5_lS7_PT6_PKS3_21rocsparse_index_base_b.uses_flat_scratch, 0
	.set _ZN9rocsparseL16sddmm_ell_kernelILi512ELi8EdiidddEEv20rocsparse_operation_S1_16rocsparse_order_S2_T3_S3_S3_T2_NS_24const_host_device_scalarIT1_EEPKT4_lPKT5_lS7_PT6_PKS3_21rocsparse_index_base_b.has_dyn_sized_stack, 0
	.set _ZN9rocsparseL16sddmm_ell_kernelILi512ELi8EdiidddEEv20rocsparse_operation_S1_16rocsparse_order_S2_T3_S3_S3_T2_NS_24const_host_device_scalarIT1_EEPKT4_lPKT5_lS7_PT6_PKS3_21rocsparse_index_base_b.has_recursion, 0
	.set _ZN9rocsparseL16sddmm_ell_kernelILi512ELi8EdiidddEEv20rocsparse_operation_S1_16rocsparse_order_S2_T3_S3_S3_T2_NS_24const_host_device_scalarIT1_EEPKT4_lPKT5_lS7_PT6_PKS3_21rocsparse_index_base_b.has_indirect_call, 0
	.section	.AMDGPU.csdata,"",@progbits
; Kernel info:
; codeLenInByte = 1180
; TotalNumSgprs: 17
; NumVgprs: 20
; ScratchSize: 0
; MemoryBound: 0
; FloatMode: 240
; IeeeMode: 1
; LDSByteSize: 4096 bytes/workgroup (compile time only)
; SGPRBlocks: 0
; VGPRBlocks: 1
; NumSGPRsForWavesPerEU: 17
; NumVGPRsForWavesPerEU: 20
; NamedBarCnt: 0
; Occupancy: 16
; WaveLimiterHint : 0
; COMPUTE_PGM_RSRC2:SCRATCH_EN: 0
; COMPUTE_PGM_RSRC2:USER_SGPR: 2
; COMPUTE_PGM_RSRC2:TRAP_HANDLER: 0
; COMPUTE_PGM_RSRC2:TGID_X_EN: 1
; COMPUTE_PGM_RSRC2:TGID_Y_EN: 0
; COMPUTE_PGM_RSRC2:TGID_Z_EN: 0
; COMPUTE_PGM_RSRC2:TIDIG_COMP_CNT: 0
	.section	.text._ZN9rocsparseL16sddmm_ell_kernelILi512ELi4EdiidddEEv20rocsparse_operation_S1_16rocsparse_order_S2_T3_S3_S3_T2_NS_24const_host_device_scalarIT1_EEPKT4_lPKT5_lS7_PT6_PKS3_21rocsparse_index_base_b,"axG",@progbits,_ZN9rocsparseL16sddmm_ell_kernelILi512ELi4EdiidddEEv20rocsparse_operation_S1_16rocsparse_order_S2_T3_S3_S3_T2_NS_24const_host_device_scalarIT1_EEPKT4_lPKT5_lS7_PT6_PKS3_21rocsparse_index_base_b,comdat
	.globl	_ZN9rocsparseL16sddmm_ell_kernelILi512ELi4EdiidddEEv20rocsparse_operation_S1_16rocsparse_order_S2_T3_S3_S3_T2_NS_24const_host_device_scalarIT1_EEPKT4_lPKT5_lS7_PT6_PKS3_21rocsparse_index_base_b ; -- Begin function _ZN9rocsparseL16sddmm_ell_kernelILi512ELi4EdiidddEEv20rocsparse_operation_S1_16rocsparse_order_S2_T3_S3_S3_T2_NS_24const_host_device_scalarIT1_EEPKT4_lPKT5_lS7_PT6_PKS3_21rocsparse_index_base_b
	.p2align	8
	.type	_ZN9rocsparseL16sddmm_ell_kernelILi512ELi4EdiidddEEv20rocsparse_operation_S1_16rocsparse_order_S2_T3_S3_S3_T2_NS_24const_host_device_scalarIT1_EEPKT4_lPKT5_lS7_PT6_PKS3_21rocsparse_index_base_b,@function
_ZN9rocsparseL16sddmm_ell_kernelILi512ELi4EdiidddEEv20rocsparse_operation_S1_16rocsparse_order_S2_T3_S3_S3_T2_NS_24const_host_device_scalarIT1_EEPKT4_lPKT5_lS7_PT6_PKS3_21rocsparse_index_base_b: ; @_ZN9rocsparseL16sddmm_ell_kernelILi512ELi4EdiidddEEv20rocsparse_operation_S1_16rocsparse_order_S2_T3_S3_S3_T2_NS_24const_host_device_scalarIT1_EEPKT4_lPKT5_lS7_PT6_PKS3_21rocsparse_index_base_b
; %bb.0:
	s_clause 0x2
	s_load_b64 s[8:9], s[0:1], 0x60
	s_load_b64 s[2:3], s[0:1], 0x20
	s_load_b128 s[4:7], s[0:1], 0x40
	s_wait_kmcnt 0x0
	s_bitcmp1_b32 s9, 0
	v_mov_b64_e32 v[2:3], s[2:3]
	s_cselect_b32 s9, -1, 0
	s_delay_alu instid0(SALU_CYCLE_1)
	s_and_b32 vcc_lo, exec_lo, s9
	s_xor_b32 s9, s9, -1
	s_cbranch_vccnz .LBB15_2
; %bb.1:
	v_mov_b32_e32 v1, 0
	flat_load_b64 v[2:3], v1, s[2:3]
.LBB15_2:
	v_mov_b64_e32 v[4:5], s[6:7]
	s_and_not1_b32 vcc_lo, exec_lo, s9
	s_cbranch_vccnz .LBB15_4
; %bb.3:
	s_wait_xcnt 0x0
	v_mov_b32_e32 v1, 0
	flat_load_b64 v[4:5], v1, s[6:7]
.LBB15_4:
	s_wait_loadcnt_dscnt 0x0
	v_cmp_neq_f64_e32 vcc_lo, 0, v[2:3]
	s_delay_alu instid0(VALU_DEP_2) | instskip(SKIP_1) | instid1(SALU_CYCLE_1)
	v_cmp_neq_f64_e64 s2, 1.0, v[4:5]
	s_or_b32 s2, vcc_lo, s2
	s_and_saveexec_b32 s3, s2
	s_cbranch_execz .LBB15_33
; %bb.5:
	s_load_b64 s[2:3], s[0:1], 0x18
	s_bfe_u32 s6, ttmp6, 0x4000c
	s_and_b32 s7, ttmp6, 15
	s_add_co_i32 s6, s6, 1
	s_getreg_b32 s9, hwreg(HW_REG_IB_STS2, 6, 4)
	s_mul_i32 s6, ttmp9, s6
	v_lshrrev_b32_e32 v14, 2, v0
	s_add_co_i32 s7, s7, s6
	s_cmp_eq_u32 s9, 0
	s_cselect_b32 s6, ttmp9, s7
	s_delay_alu instid0(VALU_DEP_1) | instid1(SALU_CYCLE_1)
	v_lshl_or_b32 v6, s6, 7, v14
	s_wait_kmcnt 0x0
	s_delay_alu instid0(VALU_DEP_1)
	v_cmp_gt_i32_e32 vcc_lo, s3, v6
	s_and_b32 exec_lo, exec_lo, vcc_lo
	s_cbranch_execz .LBB15_33
; %bb.6:
	s_load_b64 s[6:7], s[0:1], 0x58
	s_mov_b32 s13, -1
	s_wait_kmcnt 0x0
	global_load_b32 v1, v6, s[6:7] scale_offset
	s_wait_loadcnt 0x0
	v_subrev_nc_u32_e32 v8, s8, v1
	s_delay_alu instid0(VALU_DEP_1)
	v_cmp_lt_i32_e32 vcc_lo, -1, v8
	s_and_b32 exec_lo, exec_lo, vcc_lo
	s_cbranch_execz .LBB15_33
; %bb.7:
	s_clause 0x1
	s_load_b128 s[8:11], s[0:1], 0x0
	s_load_b32 s6, s[0:1], 0x10
                                        ; implicit-def: $vgpr10_vgpr11
	s_wait_kmcnt 0x0
	s_cmp_eq_u32 s10, 1
	s_cselect_b32 s3, -1, 0
	s_cmp_eq_u32 s8, 0x6f
	s_cselect_b32 s12, -1, 0
	s_cmp_lg_u32 s8, 0x6f
	s_cselect_b32 s8, -1, 0
	s_abs_i32 s14, s6
	s_delay_alu instid0(SALU_CYCLE_1) | instskip(SKIP_1) | instid1(SALU_CYCLE_2)
	s_cvt_f32_u32 s6, s14
	s_sub_co_i32 s7, 0, s14
	v_rcp_iflag_f32_e32 v1, s6
	v_nop
	s_delay_alu instid0(TRANS32_DEP_1) | instskip(SKIP_2) | instid1(VALU_DEP_1)
	v_readfirstlane_b32 s6, v1
	v_sub_nc_u32_e32 v1, 0, v6
	s_mul_f32 s6, s6, 0x4f7ffffe
	v_max_i32_e32 v1, v6, v1
	s_delay_alu instid0(SALU_CYCLE_2) | instskip(NEXT) | instid1(SALU_CYCLE_3)
	s_cvt_u32_f32 s6, s6
	s_mul_i32 s7, s7, s6
	s_delay_alu instid0(SALU_CYCLE_1) | instskip(NEXT) | instid1(SALU_CYCLE_1)
	s_mul_hi_u32 s7, s6, s7
	s_add_co_i32 s6, s6, s7
	s_cmp_lg_u32 s10, 1
	v_mul_hi_u32 v7, v1, s6
	s_load_b64 s[6:7], s[0:1], 0x30
	s_delay_alu instid0(VALU_DEP_1) | instskip(NEXT) | instid1(VALU_DEP_1)
	v_mul_lo_u32 v7, v7, s14
	v_sub_nc_u32_e32 v1, v1, v7
	s_delay_alu instid0(VALU_DEP_1) | instskip(SKIP_1) | instid1(VALU_DEP_2)
	v_subrev_nc_u32_e32 v7, s14, v1
	v_cmp_le_u32_e32 vcc_lo, s14, v1
	v_dual_cndmask_b32 v1, v1, v7, vcc_lo :: v_dual_ashrrev_i32 v7, 31, v6
	s_delay_alu instid0(VALU_DEP_1) | instskip(SKIP_1) | instid1(VALU_DEP_2)
	v_subrev_nc_u32_e32 v9, s14, v1
	v_cmp_le_u32_e32 vcc_lo, s14, v1
	v_cndmask_b32_e32 v1, v1, v9, vcc_lo
	s_delay_alu instid0(VALU_DEP_1) | instskip(NEXT) | instid1(VALU_DEP_1)
	v_xor_b32_e32 v1, v1, v7
	v_sub_nc_u32_e32 v12, v1, v7
	s_delay_alu instid0(VALU_DEP_1)
	v_ashrrev_i32_e32 v13, 31, v12
	s_cbranch_scc0 .LBB15_11
; %bb.8:
	s_delay_alu instid0(VALU_DEP_1)
	v_mov_b64_e32 v[10:11], v[12:13]
	s_and_not1_b32 vcc_lo, exec_lo, s12
	s_cbranch_vccnz .LBB15_10
; %bb.9:
	s_wait_kmcnt 0x0
	v_mul_u64_e32 v[10:11], s[6:7], v[12:13]
.LBB15_10:
	s_mov_b32 s13, 0
.LBB15_11:
	s_delay_alu instid0(SALU_CYCLE_1)
	s_and_not1_b32 vcc_lo, exec_lo, s13
	s_cbranch_vccnz .LBB15_15
; %bb.12:
	s_and_not1_b32 vcc_lo, exec_lo, s8
	s_cbranch_vccnz .LBB15_14
; %bb.13:
	s_wait_kmcnt 0x0
	v_mul_u64_e32 v[12:13], s[6:7], v[12:13]
.LBB15_14:
	s_delay_alu instid0(VALU_DEP_1)
	v_mov_b64_e32 v[10:11], v[12:13]
.LBB15_15:
	s_cmp_eq_u32 s11, 1
	v_mov_b32_e32 v9, 0
	s_cselect_b32 s10, -1, 0
	s_cmp_eq_u32 s9, 0x6f
	s_cselect_b32 s13, -1, 0
	s_cmp_lg_u32 s9, 0x6f
	s_cselect_b32 s8, -1, 0
	s_cmp_lg_u32 s11, 1
	s_cbranch_scc0 .LBB15_19
; %bb.16:
	v_mov_b64_e32 v[12:13], v[8:9]
	s_and_not1_b32 vcc_lo, exec_lo, s8
	s_cbranch_vccnz .LBB15_18
; %bb.17:
	v_mul_u64_e32 v[12:13], s[4:5], v[8:9]
.LBB15_18:
	s_cbranch_execz .LBB15_20
	s_branch .LBB15_23
.LBB15_19:
                                        ; implicit-def: $vgpr12_vgpr13
.LBB15_20:
	s_and_not1_b32 vcc_lo, exec_lo, s13
	s_cbranch_vccnz .LBB15_22
; %bb.21:
	v_mul_u64_e32 v[8:9], s[4:5], v[8:9]
.LBB15_22:
	s_delay_alu instid0(VALU_DEP_1)
	v_mov_b64_e32 v[12:13], v[8:9]
.LBB15_23:
	v_mov_b64_e32 v[8:9], 0
	v_and_b32_e32 v15, 3, v0
	s_mov_b32 s8, exec_lo
	s_delay_alu instid0(VALU_DEP_1)
	v_cmpx_gt_i32_e64 s2, v15
	s_cbranch_execz .LBB15_27
; %bb.24:
	s_xor_b32 s3, s12, s3
	v_dual_mov_b32 v1, 0 :: v_dual_bitop2_b32 v0, 3, v0 bitop3:0x40
	s_and_b32 s3, s3, exec_lo
	s_wait_kmcnt 0x0
	s_cselect_b32 s7, 0, s7
	s_cselect_b32 s6, 1, s6
	s_xor_b32 s3, s13, s10
	v_mul_u64_e32 v[8:9], s[6:7], v[0:1]
	s_and_b32 s3, s3, exec_lo
	s_cselect_b32 s11, s5, 0
	s_cselect_b32 s10, s4, 1
	s_clause 0x1
	s_load_b64 s[4:5], s[0:1], 0x28
	s_load_b64 s[12:13], s[0:1], 0x38
	v_mul_u64_e32 v[0:1], s[10:11], v[0:1]
	v_lshlrev_b64_e32 v[10:11], 3, v[10:11]
	v_lshlrev_b64_e32 v[12:13], 3, v[12:13]
	s_mov_b32 s3, 0
	s_delay_alu instid0(VALU_DEP_2) | instskip(NEXT) | instid1(VALU_DEP_2)
	v_lshl_add_u64 v[8:9], v[8:9], 3, v[10:11]
	v_lshl_add_u64 v[10:11], v[0:1], 3, v[12:13]
	s_wait_kmcnt 0x0
	s_delay_alu instid0(VALU_DEP_2)
	v_add_nc_u64_e32 v[0:1], s[4:5], v[8:9]
	v_mov_b64_e32 v[8:9], 0
	v_mov_b32_e32 v12, v15
	s_lshl_b64 s[4:5], s[6:7], 5
	v_add_nc_u64_e32 v[10:11], s[12:13], v[10:11]
	s_lshl_b64 s[6:7], s[10:11], 5
.LBB15_25:                              ; =>This Inner Loop Header: Depth=1
	global_load_b64 v[16:17], v[0:1], off
	global_load_b64 v[18:19], v[10:11], off
	v_add_nc_u32_e32 v12, 4, v12
	s_wait_xcnt 0x1
	v_add_nc_u64_e32 v[0:1], s[4:5], v[0:1]
	s_wait_xcnt 0x0
	v_add_nc_u64_e32 v[10:11], s[6:7], v[10:11]
	v_cmp_le_i32_e32 vcc_lo, s2, v12
	s_or_b32 s3, vcc_lo, s3
	s_wait_loadcnt 0x0
	v_fmac_f64_e32 v[8:9], v[16:17], v[18:19]
	s_and_not1_b32 exec_lo, exec_lo, s3
	s_cbranch_execnz .LBB15_25
; %bb.26:
	s_or_b32 exec_lo, exec_lo, s3
.LBB15_27:
	s_delay_alu instid0(SALU_CYCLE_1) | instskip(SKIP_4) | instid1(VALU_DEP_1)
	s_or_b32 exec_lo, exec_lo, s8
	s_wait_xcnt 0x0
	s_load_b64 s[0:1], s[0:1], 0x50
	v_lshlrev_b32_e32 v0, 5, v14
	s_mov_b32 s2, exec_lo
	v_lshl_or_b32 v1, v15, 3, v0
	ds_store_b64 v1, v[8:9]
	s_wait_dscnt 0x0
	s_barrier_signal -1
	s_barrier_wait -1
	v_cmpx_gt_u32_e32 2, v15
	s_cbranch_execz .LBB15_29
; %bb.28:
	ds_load_2addr_b64 v[8:11], v1 offset1:2
	s_wait_dscnt 0x0
	v_add_f64_e32 v[8:9], v[10:11], v[8:9]
	ds_store_b64 v1, v[8:9]
.LBB15_29:
	s_or_b32 exec_lo, exec_lo, s2
	v_cmp_eq_u32_e32 vcc_lo, 0, v15
	s_wait_dscnt 0x0
	s_barrier_signal -1
	s_barrier_wait -1
	s_and_saveexec_b32 s2, vcc_lo
	s_cbranch_execz .LBB15_31
; %bb.30:
	ds_load_2addr_b64 v[8:11], v1 offset1:1
	s_wait_dscnt 0x0
	v_add_f64_e32 v[8:9], v[10:11], v[8:9]
	ds_store_b64 v1, v[8:9]
.LBB15_31:
	s_or_b32 exec_lo, exec_lo, s2
	s_wait_dscnt 0x0
	s_barrier_signal -1
	s_barrier_wait -1
	s_and_b32 exec_lo, exec_lo, vcc_lo
	s_cbranch_execz .LBB15_33
; %bb.32:
	s_wait_kmcnt 0x0
	v_lshl_add_u64 v[6:7], v[6:7], 3, s[0:1]
	ds_load_b64 v[0:1], v0
	global_load_b64 v[8:9], v[6:7], off
	s_wait_dscnt 0x0
	v_mul_f64_e32 v[0:1], v[2:3], v[0:1]
	s_wait_loadcnt 0x0
	s_delay_alu instid0(VALU_DEP_1)
	v_fmac_f64_e32 v[0:1], v[4:5], v[8:9]
	global_store_b64 v[6:7], v[0:1], off
.LBB15_33:
	s_endpgm
	.section	.rodata,"a",@progbits
	.p2align	6, 0x0
	.amdhsa_kernel _ZN9rocsparseL16sddmm_ell_kernelILi512ELi4EdiidddEEv20rocsparse_operation_S1_16rocsparse_order_S2_T3_S3_S3_T2_NS_24const_host_device_scalarIT1_EEPKT4_lPKT5_lS7_PT6_PKS3_21rocsparse_index_base_b
		.amdhsa_group_segment_fixed_size 4096
		.amdhsa_private_segment_fixed_size 0
		.amdhsa_kernarg_size 104
		.amdhsa_user_sgpr_count 2
		.amdhsa_user_sgpr_dispatch_ptr 0
		.amdhsa_user_sgpr_queue_ptr 0
		.amdhsa_user_sgpr_kernarg_segment_ptr 1
		.amdhsa_user_sgpr_dispatch_id 0
		.amdhsa_user_sgpr_kernarg_preload_length 0
		.amdhsa_user_sgpr_kernarg_preload_offset 0
		.amdhsa_user_sgpr_private_segment_size 0
		.amdhsa_wavefront_size32 1
		.amdhsa_uses_dynamic_stack 0
		.amdhsa_enable_private_segment 0
		.amdhsa_system_sgpr_workgroup_id_x 1
		.amdhsa_system_sgpr_workgroup_id_y 0
		.amdhsa_system_sgpr_workgroup_id_z 0
		.amdhsa_system_sgpr_workgroup_info 0
		.amdhsa_system_vgpr_workitem_id 0
		.amdhsa_next_free_vgpr 20
		.amdhsa_next_free_sgpr 15
		.amdhsa_named_barrier_count 0
		.amdhsa_reserve_vcc 1
		.amdhsa_float_round_mode_32 0
		.amdhsa_float_round_mode_16_64 0
		.amdhsa_float_denorm_mode_32 3
		.amdhsa_float_denorm_mode_16_64 3
		.amdhsa_fp16_overflow 0
		.amdhsa_memory_ordered 1
		.amdhsa_forward_progress 1
		.amdhsa_inst_pref_size 9
		.amdhsa_round_robin_scheduling 0
		.amdhsa_exception_fp_ieee_invalid_op 0
		.amdhsa_exception_fp_denorm_src 0
		.amdhsa_exception_fp_ieee_div_zero 0
		.amdhsa_exception_fp_ieee_overflow 0
		.amdhsa_exception_fp_ieee_underflow 0
		.amdhsa_exception_fp_ieee_inexact 0
		.amdhsa_exception_int_div_zero 0
	.end_amdhsa_kernel
	.section	.text._ZN9rocsparseL16sddmm_ell_kernelILi512ELi4EdiidddEEv20rocsparse_operation_S1_16rocsparse_order_S2_T3_S3_S3_T2_NS_24const_host_device_scalarIT1_EEPKT4_lPKT5_lS7_PT6_PKS3_21rocsparse_index_base_b,"axG",@progbits,_ZN9rocsparseL16sddmm_ell_kernelILi512ELi4EdiidddEEv20rocsparse_operation_S1_16rocsparse_order_S2_T3_S3_S3_T2_NS_24const_host_device_scalarIT1_EEPKT4_lPKT5_lS7_PT6_PKS3_21rocsparse_index_base_b,comdat
.Lfunc_end15:
	.size	_ZN9rocsparseL16sddmm_ell_kernelILi512ELi4EdiidddEEv20rocsparse_operation_S1_16rocsparse_order_S2_T3_S3_S3_T2_NS_24const_host_device_scalarIT1_EEPKT4_lPKT5_lS7_PT6_PKS3_21rocsparse_index_base_b, .Lfunc_end15-_ZN9rocsparseL16sddmm_ell_kernelILi512ELi4EdiidddEEv20rocsparse_operation_S1_16rocsparse_order_S2_T3_S3_S3_T2_NS_24const_host_device_scalarIT1_EEPKT4_lPKT5_lS7_PT6_PKS3_21rocsparse_index_base_b
                                        ; -- End function
	.set _ZN9rocsparseL16sddmm_ell_kernelILi512ELi4EdiidddEEv20rocsparse_operation_S1_16rocsparse_order_S2_T3_S3_S3_T2_NS_24const_host_device_scalarIT1_EEPKT4_lPKT5_lS7_PT6_PKS3_21rocsparse_index_base_b.num_vgpr, 20
	.set _ZN9rocsparseL16sddmm_ell_kernelILi512ELi4EdiidddEEv20rocsparse_operation_S1_16rocsparse_order_S2_T3_S3_S3_T2_NS_24const_host_device_scalarIT1_EEPKT4_lPKT5_lS7_PT6_PKS3_21rocsparse_index_base_b.num_agpr, 0
	.set _ZN9rocsparseL16sddmm_ell_kernelILi512ELi4EdiidddEEv20rocsparse_operation_S1_16rocsparse_order_S2_T3_S3_S3_T2_NS_24const_host_device_scalarIT1_EEPKT4_lPKT5_lS7_PT6_PKS3_21rocsparse_index_base_b.numbered_sgpr, 15
	.set _ZN9rocsparseL16sddmm_ell_kernelILi512ELi4EdiidddEEv20rocsparse_operation_S1_16rocsparse_order_S2_T3_S3_S3_T2_NS_24const_host_device_scalarIT1_EEPKT4_lPKT5_lS7_PT6_PKS3_21rocsparse_index_base_b.num_named_barrier, 0
	.set _ZN9rocsparseL16sddmm_ell_kernelILi512ELi4EdiidddEEv20rocsparse_operation_S1_16rocsparse_order_S2_T3_S3_S3_T2_NS_24const_host_device_scalarIT1_EEPKT4_lPKT5_lS7_PT6_PKS3_21rocsparse_index_base_b.private_seg_size, 0
	.set _ZN9rocsparseL16sddmm_ell_kernelILi512ELi4EdiidddEEv20rocsparse_operation_S1_16rocsparse_order_S2_T3_S3_S3_T2_NS_24const_host_device_scalarIT1_EEPKT4_lPKT5_lS7_PT6_PKS3_21rocsparse_index_base_b.uses_vcc, 1
	.set _ZN9rocsparseL16sddmm_ell_kernelILi512ELi4EdiidddEEv20rocsparse_operation_S1_16rocsparse_order_S2_T3_S3_S3_T2_NS_24const_host_device_scalarIT1_EEPKT4_lPKT5_lS7_PT6_PKS3_21rocsparse_index_base_b.uses_flat_scratch, 0
	.set _ZN9rocsparseL16sddmm_ell_kernelILi512ELi4EdiidddEEv20rocsparse_operation_S1_16rocsparse_order_S2_T3_S3_S3_T2_NS_24const_host_device_scalarIT1_EEPKT4_lPKT5_lS7_PT6_PKS3_21rocsparse_index_base_b.has_dyn_sized_stack, 0
	.set _ZN9rocsparseL16sddmm_ell_kernelILi512ELi4EdiidddEEv20rocsparse_operation_S1_16rocsparse_order_S2_T3_S3_S3_T2_NS_24const_host_device_scalarIT1_EEPKT4_lPKT5_lS7_PT6_PKS3_21rocsparse_index_base_b.has_recursion, 0
	.set _ZN9rocsparseL16sddmm_ell_kernelILi512ELi4EdiidddEEv20rocsparse_operation_S1_16rocsparse_order_S2_T3_S3_S3_T2_NS_24const_host_device_scalarIT1_EEPKT4_lPKT5_lS7_PT6_PKS3_21rocsparse_index_base_b.has_indirect_call, 0
	.section	.AMDGPU.csdata,"",@progbits
; Kernel info:
; codeLenInByte = 1124
; TotalNumSgprs: 17
; NumVgprs: 20
; ScratchSize: 0
; MemoryBound: 0
; FloatMode: 240
; IeeeMode: 1
; LDSByteSize: 4096 bytes/workgroup (compile time only)
; SGPRBlocks: 0
; VGPRBlocks: 1
; NumSGPRsForWavesPerEU: 17
; NumVGPRsForWavesPerEU: 20
; NamedBarCnt: 0
; Occupancy: 16
; WaveLimiterHint : 0
; COMPUTE_PGM_RSRC2:SCRATCH_EN: 0
; COMPUTE_PGM_RSRC2:USER_SGPR: 2
; COMPUTE_PGM_RSRC2:TRAP_HANDLER: 0
; COMPUTE_PGM_RSRC2:TGID_X_EN: 1
; COMPUTE_PGM_RSRC2:TGID_Y_EN: 0
; COMPUTE_PGM_RSRC2:TGID_Z_EN: 0
; COMPUTE_PGM_RSRC2:TIDIG_COMP_CNT: 0
	.section	.text._ZN9rocsparseL16sddmm_ell_kernelILi512ELi2EdiidddEEv20rocsparse_operation_S1_16rocsparse_order_S2_T3_S3_S3_T2_NS_24const_host_device_scalarIT1_EEPKT4_lPKT5_lS7_PT6_PKS3_21rocsparse_index_base_b,"axG",@progbits,_ZN9rocsparseL16sddmm_ell_kernelILi512ELi2EdiidddEEv20rocsparse_operation_S1_16rocsparse_order_S2_T3_S3_S3_T2_NS_24const_host_device_scalarIT1_EEPKT4_lPKT5_lS7_PT6_PKS3_21rocsparse_index_base_b,comdat
	.globl	_ZN9rocsparseL16sddmm_ell_kernelILi512ELi2EdiidddEEv20rocsparse_operation_S1_16rocsparse_order_S2_T3_S3_S3_T2_NS_24const_host_device_scalarIT1_EEPKT4_lPKT5_lS7_PT6_PKS3_21rocsparse_index_base_b ; -- Begin function _ZN9rocsparseL16sddmm_ell_kernelILi512ELi2EdiidddEEv20rocsparse_operation_S1_16rocsparse_order_S2_T3_S3_S3_T2_NS_24const_host_device_scalarIT1_EEPKT4_lPKT5_lS7_PT6_PKS3_21rocsparse_index_base_b
	.p2align	8
	.type	_ZN9rocsparseL16sddmm_ell_kernelILi512ELi2EdiidddEEv20rocsparse_operation_S1_16rocsparse_order_S2_T3_S3_S3_T2_NS_24const_host_device_scalarIT1_EEPKT4_lPKT5_lS7_PT6_PKS3_21rocsparse_index_base_b,@function
_ZN9rocsparseL16sddmm_ell_kernelILi512ELi2EdiidddEEv20rocsparse_operation_S1_16rocsparse_order_S2_T3_S3_S3_T2_NS_24const_host_device_scalarIT1_EEPKT4_lPKT5_lS7_PT6_PKS3_21rocsparse_index_base_b: ; @_ZN9rocsparseL16sddmm_ell_kernelILi512ELi2EdiidddEEv20rocsparse_operation_S1_16rocsparse_order_S2_T3_S3_S3_T2_NS_24const_host_device_scalarIT1_EEPKT4_lPKT5_lS7_PT6_PKS3_21rocsparse_index_base_b
; %bb.0:
	s_clause 0x2
	s_load_b64 s[8:9], s[0:1], 0x60
	s_load_b64 s[2:3], s[0:1], 0x20
	s_load_b128 s[4:7], s[0:1], 0x40
	s_wait_kmcnt 0x0
	s_bitcmp1_b32 s9, 0
	v_mov_b64_e32 v[2:3], s[2:3]
	s_cselect_b32 s9, -1, 0
	s_delay_alu instid0(SALU_CYCLE_1)
	s_and_b32 vcc_lo, exec_lo, s9
	s_xor_b32 s9, s9, -1
	s_cbranch_vccnz .LBB16_2
; %bb.1:
	v_mov_b32_e32 v1, 0
	flat_load_b64 v[2:3], v1, s[2:3]
.LBB16_2:
	v_mov_b64_e32 v[4:5], s[6:7]
	s_and_not1_b32 vcc_lo, exec_lo, s9
	s_cbranch_vccnz .LBB16_4
; %bb.3:
	s_wait_xcnt 0x0
	v_mov_b32_e32 v1, 0
	flat_load_b64 v[4:5], v1, s[6:7]
.LBB16_4:
	s_wait_loadcnt_dscnt 0x0
	v_cmp_neq_f64_e32 vcc_lo, 0, v[2:3]
	s_delay_alu instid0(VALU_DEP_2) | instskip(SKIP_1) | instid1(SALU_CYCLE_1)
	v_cmp_neq_f64_e64 s2, 1.0, v[4:5]
	s_or_b32 s2, vcc_lo, s2
	s_and_saveexec_b32 s3, s2
	s_cbranch_execz .LBB16_31
; %bb.5:
	s_load_b64 s[2:3], s[0:1], 0x18
	s_bfe_u32 s6, ttmp6, 0x4000c
	s_and_b32 s7, ttmp6, 15
	s_add_co_i32 s6, s6, 1
	s_getreg_b32 s9, hwreg(HW_REG_IB_STS2, 6, 4)
	s_mul_i32 s6, ttmp9, s6
	v_lshrrev_b32_e32 v14, 1, v0
	s_add_co_i32 s7, s7, s6
	s_cmp_eq_u32 s9, 0
	s_cselect_b32 s6, ttmp9, s7
	s_delay_alu instid0(VALU_DEP_1) | instid1(SALU_CYCLE_1)
	v_lshl_or_b32 v6, s6, 8, v14
	s_wait_kmcnt 0x0
	s_delay_alu instid0(VALU_DEP_1)
	v_cmp_gt_i32_e32 vcc_lo, s3, v6
	s_and_b32 exec_lo, exec_lo, vcc_lo
	s_cbranch_execz .LBB16_31
; %bb.6:
	s_load_b64 s[6:7], s[0:1], 0x58
	s_mov_b32 s13, -1
	s_wait_kmcnt 0x0
	global_load_b32 v1, v6, s[6:7] scale_offset
	s_wait_loadcnt 0x0
	v_subrev_nc_u32_e32 v8, s8, v1
	s_delay_alu instid0(VALU_DEP_1)
	v_cmp_lt_i32_e32 vcc_lo, -1, v8
	s_and_b32 exec_lo, exec_lo, vcc_lo
	s_cbranch_execz .LBB16_31
; %bb.7:
	s_clause 0x1
	s_load_b128 s[8:11], s[0:1], 0x0
	s_load_b32 s6, s[0:1], 0x10
                                        ; implicit-def: $vgpr10_vgpr11
	s_wait_kmcnt 0x0
	s_cmp_eq_u32 s10, 1
	s_cselect_b32 s3, -1, 0
	s_cmp_eq_u32 s8, 0x6f
	s_cselect_b32 s12, -1, 0
	s_cmp_lg_u32 s8, 0x6f
	s_cselect_b32 s8, -1, 0
	s_abs_i32 s14, s6
	s_delay_alu instid0(SALU_CYCLE_1) | instskip(SKIP_1) | instid1(SALU_CYCLE_2)
	s_cvt_f32_u32 s6, s14
	s_sub_co_i32 s7, 0, s14
	v_rcp_iflag_f32_e32 v1, s6
	v_nop
	s_delay_alu instid0(TRANS32_DEP_1) | instskip(SKIP_2) | instid1(VALU_DEP_1)
	v_readfirstlane_b32 s6, v1
	v_sub_nc_u32_e32 v1, 0, v6
	s_mul_f32 s6, s6, 0x4f7ffffe
	v_max_i32_e32 v1, v6, v1
	s_delay_alu instid0(SALU_CYCLE_2) | instskip(NEXT) | instid1(SALU_CYCLE_3)
	s_cvt_u32_f32 s6, s6
	s_mul_i32 s7, s7, s6
	s_delay_alu instid0(SALU_CYCLE_1) | instskip(NEXT) | instid1(SALU_CYCLE_1)
	s_mul_hi_u32 s7, s6, s7
	s_add_co_i32 s6, s6, s7
	s_cmp_lg_u32 s10, 1
	v_mul_hi_u32 v7, v1, s6
	s_load_b64 s[6:7], s[0:1], 0x30
	s_delay_alu instid0(VALU_DEP_1) | instskip(NEXT) | instid1(VALU_DEP_1)
	v_mul_lo_u32 v7, v7, s14
	v_sub_nc_u32_e32 v1, v1, v7
	s_delay_alu instid0(VALU_DEP_1) | instskip(SKIP_1) | instid1(VALU_DEP_2)
	v_subrev_nc_u32_e32 v7, s14, v1
	v_cmp_le_u32_e32 vcc_lo, s14, v1
	v_dual_cndmask_b32 v1, v1, v7, vcc_lo :: v_dual_ashrrev_i32 v7, 31, v6
	s_delay_alu instid0(VALU_DEP_1) | instskip(SKIP_1) | instid1(VALU_DEP_2)
	v_subrev_nc_u32_e32 v9, s14, v1
	v_cmp_le_u32_e32 vcc_lo, s14, v1
	v_cndmask_b32_e32 v1, v1, v9, vcc_lo
	s_delay_alu instid0(VALU_DEP_1) | instskip(NEXT) | instid1(VALU_DEP_1)
	v_xor_b32_e32 v1, v1, v7
	v_sub_nc_u32_e32 v12, v1, v7
	s_delay_alu instid0(VALU_DEP_1)
	v_ashrrev_i32_e32 v13, 31, v12
	s_cbranch_scc0 .LBB16_11
; %bb.8:
	s_delay_alu instid0(VALU_DEP_1)
	v_mov_b64_e32 v[10:11], v[12:13]
	s_and_not1_b32 vcc_lo, exec_lo, s12
	s_cbranch_vccnz .LBB16_10
; %bb.9:
	s_wait_kmcnt 0x0
	v_mul_u64_e32 v[10:11], s[6:7], v[12:13]
.LBB16_10:
	s_mov_b32 s13, 0
.LBB16_11:
	s_delay_alu instid0(SALU_CYCLE_1)
	s_and_not1_b32 vcc_lo, exec_lo, s13
	s_cbranch_vccnz .LBB16_15
; %bb.12:
	s_and_not1_b32 vcc_lo, exec_lo, s8
	s_cbranch_vccnz .LBB16_14
; %bb.13:
	s_wait_kmcnt 0x0
	v_mul_u64_e32 v[12:13], s[6:7], v[12:13]
.LBB16_14:
	s_delay_alu instid0(VALU_DEP_1)
	v_mov_b64_e32 v[10:11], v[12:13]
.LBB16_15:
	s_cmp_eq_u32 s11, 1
	v_mov_b32_e32 v9, 0
	s_cselect_b32 s10, -1, 0
	s_cmp_eq_u32 s9, 0x6f
	s_cselect_b32 s13, -1, 0
	s_cmp_lg_u32 s9, 0x6f
	s_cselect_b32 s8, -1, 0
	s_cmp_lg_u32 s11, 1
	s_cbranch_scc0 .LBB16_19
; %bb.16:
	v_mov_b64_e32 v[12:13], v[8:9]
	s_and_not1_b32 vcc_lo, exec_lo, s8
	s_cbranch_vccnz .LBB16_18
; %bb.17:
	v_mul_u64_e32 v[12:13], s[4:5], v[8:9]
.LBB16_18:
	s_cbranch_execz .LBB16_20
	s_branch .LBB16_23
.LBB16_19:
                                        ; implicit-def: $vgpr12_vgpr13
.LBB16_20:
	s_and_not1_b32 vcc_lo, exec_lo, s13
	s_cbranch_vccnz .LBB16_22
; %bb.21:
	v_mul_u64_e32 v[8:9], s[4:5], v[8:9]
.LBB16_22:
	s_delay_alu instid0(VALU_DEP_1)
	v_mov_b64_e32 v[12:13], v[8:9]
.LBB16_23:
	v_mov_b64_e32 v[8:9], 0
	v_and_b32_e32 v15, 1, v0
	s_mov_b32 s8, exec_lo
	s_delay_alu instid0(VALU_DEP_1)
	v_cmpx_gt_i32_e64 s2, v15
	s_cbranch_execz .LBB16_27
; %bb.24:
	s_xor_b32 s3, s12, s3
	v_dual_mov_b32 v1, 0 :: v_dual_bitop2_b32 v0, 1, v0 bitop3:0x40
	s_and_b32 s3, s3, exec_lo
	s_wait_kmcnt 0x0
	s_cselect_b32 s7, 0, s7
	s_cselect_b32 s6, 1, s6
	s_xor_b32 s3, s13, s10
	v_mul_u64_e32 v[8:9], s[6:7], v[0:1]
	s_and_b32 s3, s3, exec_lo
	s_cselect_b32 s11, s5, 0
	s_cselect_b32 s10, s4, 1
	s_clause 0x1
	s_load_b64 s[4:5], s[0:1], 0x28
	s_load_b64 s[12:13], s[0:1], 0x38
	v_mul_u64_e32 v[0:1], s[10:11], v[0:1]
	v_lshlrev_b64_e32 v[10:11], 3, v[10:11]
	v_lshlrev_b64_e32 v[12:13], 3, v[12:13]
	s_mov_b32 s3, 0
	s_delay_alu instid0(VALU_DEP_2) | instskip(NEXT) | instid1(VALU_DEP_2)
	v_lshl_add_u64 v[8:9], v[8:9], 3, v[10:11]
	v_lshl_add_u64 v[10:11], v[0:1], 3, v[12:13]
	s_wait_kmcnt 0x0
	s_delay_alu instid0(VALU_DEP_2)
	v_add_nc_u64_e32 v[0:1], s[4:5], v[8:9]
	v_mov_b64_e32 v[8:9], 0
	v_mov_b32_e32 v12, v15
	s_lshl_b64 s[4:5], s[6:7], 4
	v_add_nc_u64_e32 v[10:11], s[12:13], v[10:11]
	s_lshl_b64 s[6:7], s[10:11], 4
.LBB16_25:                              ; =>This Inner Loop Header: Depth=1
	global_load_b64 v[16:17], v[0:1], off
	global_load_b64 v[18:19], v[10:11], off
	v_add_nc_u32_e32 v12, 2, v12
	s_wait_xcnt 0x1
	v_add_nc_u64_e32 v[0:1], s[4:5], v[0:1]
	s_wait_xcnt 0x0
	v_add_nc_u64_e32 v[10:11], s[6:7], v[10:11]
	v_cmp_le_i32_e32 vcc_lo, s2, v12
	s_or_b32 s3, vcc_lo, s3
	s_wait_loadcnt 0x0
	v_fmac_f64_e32 v[8:9], v[16:17], v[18:19]
	s_and_not1_b32 exec_lo, exec_lo, s3
	s_cbranch_execnz .LBB16_25
; %bb.26:
	s_or_b32 exec_lo, exec_lo, s3
.LBB16_27:
	s_delay_alu instid0(SALU_CYCLE_1) | instskip(SKIP_4) | instid1(VALU_DEP_2)
	s_or_b32 exec_lo, exec_lo, s8
	s_wait_xcnt 0x0
	s_load_b64 s[0:1], s[0:1], 0x50
	v_lshlrev_b32_e32 v0, 4, v14
	v_cmp_eq_u32_e32 vcc_lo, 0, v15
	v_lshl_or_b32 v1, v15, 3, v0
	ds_store_b64 v1, v[8:9]
	s_wait_dscnt 0x0
	s_barrier_signal -1
	s_barrier_wait -1
	s_and_saveexec_b32 s2, vcc_lo
	s_cbranch_execz .LBB16_29
; %bb.28:
	ds_load_b64 v[8:9], v0 offset:8
	ds_load_b64 v[10:11], v1
	s_wait_dscnt 0x0
	v_add_f64_e32 v[8:9], v[8:9], v[10:11]
	ds_store_b64 v1, v[8:9]
.LBB16_29:
	s_or_b32 exec_lo, exec_lo, s2
	s_wait_dscnt 0x0
	s_barrier_signal -1
	s_barrier_wait -1
	s_and_b32 exec_lo, exec_lo, vcc_lo
	s_cbranch_execz .LBB16_31
; %bb.30:
	s_wait_kmcnt 0x0
	v_lshl_add_u64 v[6:7], v[6:7], 3, s[0:1]
	ds_load_b64 v[0:1], v0
	global_load_b64 v[8:9], v[6:7], off
	s_wait_dscnt 0x0
	v_mul_f64_e32 v[0:1], v[2:3], v[0:1]
	s_wait_loadcnt 0x0
	s_delay_alu instid0(VALU_DEP_1)
	v_fmac_f64_e32 v[0:1], v[4:5], v[8:9]
	global_store_b64 v[6:7], v[0:1], off
.LBB16_31:
	s_endpgm
	.section	.rodata,"a",@progbits
	.p2align	6, 0x0
	.amdhsa_kernel _ZN9rocsparseL16sddmm_ell_kernelILi512ELi2EdiidddEEv20rocsparse_operation_S1_16rocsparse_order_S2_T3_S3_S3_T2_NS_24const_host_device_scalarIT1_EEPKT4_lPKT5_lS7_PT6_PKS3_21rocsparse_index_base_b
		.amdhsa_group_segment_fixed_size 4096
		.amdhsa_private_segment_fixed_size 0
		.amdhsa_kernarg_size 104
		.amdhsa_user_sgpr_count 2
		.amdhsa_user_sgpr_dispatch_ptr 0
		.amdhsa_user_sgpr_queue_ptr 0
		.amdhsa_user_sgpr_kernarg_segment_ptr 1
		.amdhsa_user_sgpr_dispatch_id 0
		.amdhsa_user_sgpr_kernarg_preload_length 0
		.amdhsa_user_sgpr_kernarg_preload_offset 0
		.amdhsa_user_sgpr_private_segment_size 0
		.amdhsa_wavefront_size32 1
		.amdhsa_uses_dynamic_stack 0
		.amdhsa_enable_private_segment 0
		.amdhsa_system_sgpr_workgroup_id_x 1
		.amdhsa_system_sgpr_workgroup_id_y 0
		.amdhsa_system_sgpr_workgroup_id_z 0
		.amdhsa_system_sgpr_workgroup_info 0
		.amdhsa_system_vgpr_workitem_id 0
		.amdhsa_next_free_vgpr 20
		.amdhsa_next_free_sgpr 15
		.amdhsa_named_barrier_count 0
		.amdhsa_reserve_vcc 1
		.amdhsa_float_round_mode_32 0
		.amdhsa_float_round_mode_16_64 0
		.amdhsa_float_denorm_mode_32 3
		.amdhsa_float_denorm_mode_16_64 3
		.amdhsa_fp16_overflow 0
		.amdhsa_memory_ordered 1
		.amdhsa_forward_progress 1
		.amdhsa_inst_pref_size 9
		.amdhsa_round_robin_scheduling 0
		.amdhsa_exception_fp_ieee_invalid_op 0
		.amdhsa_exception_fp_denorm_src 0
		.amdhsa_exception_fp_ieee_div_zero 0
		.amdhsa_exception_fp_ieee_overflow 0
		.amdhsa_exception_fp_ieee_underflow 0
		.amdhsa_exception_fp_ieee_inexact 0
		.amdhsa_exception_int_div_zero 0
	.end_amdhsa_kernel
	.section	.text._ZN9rocsparseL16sddmm_ell_kernelILi512ELi2EdiidddEEv20rocsparse_operation_S1_16rocsparse_order_S2_T3_S3_S3_T2_NS_24const_host_device_scalarIT1_EEPKT4_lPKT5_lS7_PT6_PKS3_21rocsparse_index_base_b,"axG",@progbits,_ZN9rocsparseL16sddmm_ell_kernelILi512ELi2EdiidddEEv20rocsparse_operation_S1_16rocsparse_order_S2_T3_S3_S3_T2_NS_24const_host_device_scalarIT1_EEPKT4_lPKT5_lS7_PT6_PKS3_21rocsparse_index_base_b,comdat
.Lfunc_end16:
	.size	_ZN9rocsparseL16sddmm_ell_kernelILi512ELi2EdiidddEEv20rocsparse_operation_S1_16rocsparse_order_S2_T3_S3_S3_T2_NS_24const_host_device_scalarIT1_EEPKT4_lPKT5_lS7_PT6_PKS3_21rocsparse_index_base_b, .Lfunc_end16-_ZN9rocsparseL16sddmm_ell_kernelILi512ELi2EdiidddEEv20rocsparse_operation_S1_16rocsparse_order_S2_T3_S3_S3_T2_NS_24const_host_device_scalarIT1_EEPKT4_lPKT5_lS7_PT6_PKS3_21rocsparse_index_base_b
                                        ; -- End function
	.set _ZN9rocsparseL16sddmm_ell_kernelILi512ELi2EdiidddEEv20rocsparse_operation_S1_16rocsparse_order_S2_T3_S3_S3_T2_NS_24const_host_device_scalarIT1_EEPKT4_lPKT5_lS7_PT6_PKS3_21rocsparse_index_base_b.num_vgpr, 20
	.set _ZN9rocsparseL16sddmm_ell_kernelILi512ELi2EdiidddEEv20rocsparse_operation_S1_16rocsparse_order_S2_T3_S3_S3_T2_NS_24const_host_device_scalarIT1_EEPKT4_lPKT5_lS7_PT6_PKS3_21rocsparse_index_base_b.num_agpr, 0
	.set _ZN9rocsparseL16sddmm_ell_kernelILi512ELi2EdiidddEEv20rocsparse_operation_S1_16rocsparse_order_S2_T3_S3_S3_T2_NS_24const_host_device_scalarIT1_EEPKT4_lPKT5_lS7_PT6_PKS3_21rocsparse_index_base_b.numbered_sgpr, 15
	.set _ZN9rocsparseL16sddmm_ell_kernelILi512ELi2EdiidddEEv20rocsparse_operation_S1_16rocsparse_order_S2_T3_S3_S3_T2_NS_24const_host_device_scalarIT1_EEPKT4_lPKT5_lS7_PT6_PKS3_21rocsparse_index_base_b.num_named_barrier, 0
	.set _ZN9rocsparseL16sddmm_ell_kernelILi512ELi2EdiidddEEv20rocsparse_operation_S1_16rocsparse_order_S2_T3_S3_S3_T2_NS_24const_host_device_scalarIT1_EEPKT4_lPKT5_lS7_PT6_PKS3_21rocsparse_index_base_b.private_seg_size, 0
	.set _ZN9rocsparseL16sddmm_ell_kernelILi512ELi2EdiidddEEv20rocsparse_operation_S1_16rocsparse_order_S2_T3_S3_S3_T2_NS_24const_host_device_scalarIT1_EEPKT4_lPKT5_lS7_PT6_PKS3_21rocsparse_index_base_b.uses_vcc, 1
	.set _ZN9rocsparseL16sddmm_ell_kernelILi512ELi2EdiidddEEv20rocsparse_operation_S1_16rocsparse_order_S2_T3_S3_S3_T2_NS_24const_host_device_scalarIT1_EEPKT4_lPKT5_lS7_PT6_PKS3_21rocsparse_index_base_b.uses_flat_scratch, 0
	.set _ZN9rocsparseL16sddmm_ell_kernelILi512ELi2EdiidddEEv20rocsparse_operation_S1_16rocsparse_order_S2_T3_S3_S3_T2_NS_24const_host_device_scalarIT1_EEPKT4_lPKT5_lS7_PT6_PKS3_21rocsparse_index_base_b.has_dyn_sized_stack, 0
	.set _ZN9rocsparseL16sddmm_ell_kernelILi512ELi2EdiidddEEv20rocsparse_operation_S1_16rocsparse_order_S2_T3_S3_S3_T2_NS_24const_host_device_scalarIT1_EEPKT4_lPKT5_lS7_PT6_PKS3_21rocsparse_index_base_b.has_recursion, 0
	.set _ZN9rocsparseL16sddmm_ell_kernelILi512ELi2EdiidddEEv20rocsparse_operation_S1_16rocsparse_order_S2_T3_S3_S3_T2_NS_24const_host_device_scalarIT1_EEPKT4_lPKT5_lS7_PT6_PKS3_21rocsparse_index_base_b.has_indirect_call, 0
	.section	.AMDGPU.csdata,"",@progbits
; Kernel info:
; codeLenInByte = 1080
; TotalNumSgprs: 17
; NumVgprs: 20
; ScratchSize: 0
; MemoryBound: 0
; FloatMode: 240
; IeeeMode: 1
; LDSByteSize: 4096 bytes/workgroup (compile time only)
; SGPRBlocks: 0
; VGPRBlocks: 1
; NumSGPRsForWavesPerEU: 17
; NumVGPRsForWavesPerEU: 20
; NamedBarCnt: 0
; Occupancy: 16
; WaveLimiterHint : 0
; COMPUTE_PGM_RSRC2:SCRATCH_EN: 0
; COMPUTE_PGM_RSRC2:USER_SGPR: 2
; COMPUTE_PGM_RSRC2:TRAP_HANDLER: 0
; COMPUTE_PGM_RSRC2:TGID_X_EN: 1
; COMPUTE_PGM_RSRC2:TGID_Y_EN: 0
; COMPUTE_PGM_RSRC2:TGID_Z_EN: 0
; COMPUTE_PGM_RSRC2:TIDIG_COMP_CNT: 0
	.section	.text._ZN9rocsparseL16sddmm_ell_kernelILi512ELi1EdiidddEEv20rocsparse_operation_S1_16rocsparse_order_S2_T3_S3_S3_T2_NS_24const_host_device_scalarIT1_EEPKT4_lPKT5_lS7_PT6_PKS3_21rocsparse_index_base_b,"axG",@progbits,_ZN9rocsparseL16sddmm_ell_kernelILi512ELi1EdiidddEEv20rocsparse_operation_S1_16rocsparse_order_S2_T3_S3_S3_T2_NS_24const_host_device_scalarIT1_EEPKT4_lPKT5_lS7_PT6_PKS3_21rocsparse_index_base_b,comdat
	.globl	_ZN9rocsparseL16sddmm_ell_kernelILi512ELi1EdiidddEEv20rocsparse_operation_S1_16rocsparse_order_S2_T3_S3_S3_T2_NS_24const_host_device_scalarIT1_EEPKT4_lPKT5_lS7_PT6_PKS3_21rocsparse_index_base_b ; -- Begin function _ZN9rocsparseL16sddmm_ell_kernelILi512ELi1EdiidddEEv20rocsparse_operation_S1_16rocsparse_order_S2_T3_S3_S3_T2_NS_24const_host_device_scalarIT1_EEPKT4_lPKT5_lS7_PT6_PKS3_21rocsparse_index_base_b
	.p2align	8
	.type	_ZN9rocsparseL16sddmm_ell_kernelILi512ELi1EdiidddEEv20rocsparse_operation_S1_16rocsparse_order_S2_T3_S3_S3_T2_NS_24const_host_device_scalarIT1_EEPKT4_lPKT5_lS7_PT6_PKS3_21rocsparse_index_base_b,@function
_ZN9rocsparseL16sddmm_ell_kernelILi512ELi1EdiidddEEv20rocsparse_operation_S1_16rocsparse_order_S2_T3_S3_S3_T2_NS_24const_host_device_scalarIT1_EEPKT4_lPKT5_lS7_PT6_PKS3_21rocsparse_index_base_b: ; @_ZN9rocsparseL16sddmm_ell_kernelILi512ELi1EdiidddEEv20rocsparse_operation_S1_16rocsparse_order_S2_T3_S3_S3_T2_NS_24const_host_device_scalarIT1_EEPKT4_lPKT5_lS7_PT6_PKS3_21rocsparse_index_base_b
; %bb.0:
	s_clause 0x2
	s_load_b64 s[8:9], s[0:1], 0x60
	s_load_b64 s[2:3], s[0:1], 0x20
	s_load_b128 s[4:7], s[0:1], 0x40
	s_wait_kmcnt 0x0
	s_bitcmp1_b32 s9, 0
	v_mov_b64_e32 v[2:3], s[2:3]
	s_cselect_b32 s9, -1, 0
	s_delay_alu instid0(SALU_CYCLE_1)
	s_and_b32 vcc_lo, exec_lo, s9
	s_xor_b32 s9, s9, -1
	s_cbranch_vccnz .LBB17_2
; %bb.1:
	v_mov_b32_e32 v1, 0
	flat_load_b64 v[2:3], v1, s[2:3]
.LBB17_2:
	v_mov_b64_e32 v[4:5], s[6:7]
	s_and_not1_b32 vcc_lo, exec_lo, s9
	s_cbranch_vccnz .LBB17_4
; %bb.3:
	s_wait_xcnt 0x0
	v_mov_b32_e32 v1, 0
	flat_load_b64 v[4:5], v1, s[6:7]
.LBB17_4:
	s_wait_loadcnt_dscnt 0x0
	v_cmp_neq_f64_e32 vcc_lo, 0, v[2:3]
	s_delay_alu instid0(VALU_DEP_2) | instskip(SKIP_1) | instid1(SALU_CYCLE_1)
	v_cmp_neq_f64_e64 s2, 1.0, v[4:5]
	s_or_b32 s2, vcc_lo, s2
	s_and_saveexec_b32 s3, s2
	s_cbranch_execz .LBB17_28
; %bb.5:
	s_load_b64 s[2:3], s[0:1], 0x18
	s_bfe_u32 s6, ttmp6, 0x4000c
	s_and_b32 s7, ttmp6, 15
	s_add_co_i32 s6, s6, 1
	s_getreg_b32 s9, hwreg(HW_REG_IB_STS2, 6, 4)
	s_mul_i32 s6, ttmp9, s6
	s_delay_alu instid0(SALU_CYCLE_1) | instskip(SKIP_2) | instid1(SALU_CYCLE_1)
	s_add_co_i32 s7, s7, s6
	s_cmp_eq_u32 s9, 0
	s_cselect_b32 s6, ttmp9, s7
	v_lshl_or_b32 v6, s6, 9, v0
	s_wait_kmcnt 0x0
	s_delay_alu instid0(VALU_DEP_1)
	v_cmp_gt_i32_e32 vcc_lo, s3, v6
	s_and_b32 exec_lo, exec_lo, vcc_lo
	s_cbranch_execz .LBB17_28
; %bb.6:
	s_load_b64 s[6:7], s[0:1], 0x58
	s_mov_b32 s13, -1
	s_wait_kmcnt 0x0
	global_load_b32 v1, v6, s[6:7] scale_offset
	s_wait_loadcnt 0x0
	v_subrev_nc_u32_e32 v8, s8, v1
	s_delay_alu instid0(VALU_DEP_1)
	v_cmp_lt_i32_e32 vcc_lo, -1, v8
	s_and_b32 exec_lo, exec_lo, vcc_lo
	s_cbranch_execz .LBB17_28
; %bb.7:
	s_clause 0x1
	s_load_b128 s[8:11], s[0:1], 0x0
	s_load_b32 s6, s[0:1], 0x10
                                        ; implicit-def: $vgpr10_vgpr11
	s_wait_kmcnt 0x0
	s_cmp_eq_u32 s10, 1
	s_cselect_b32 s3, -1, 0
	s_cmp_eq_u32 s8, 0x6f
	s_cselect_b32 s12, -1, 0
	s_cmp_lg_u32 s8, 0x6f
	s_cselect_b32 s8, -1, 0
	s_abs_i32 s14, s6
	s_delay_alu instid0(SALU_CYCLE_1) | instskip(SKIP_1) | instid1(SALU_CYCLE_2)
	s_cvt_f32_u32 s6, s14
	s_sub_co_i32 s7, 0, s14
	v_rcp_iflag_f32_e32 v1, s6
	v_nop
	s_delay_alu instid0(TRANS32_DEP_1) | instskip(SKIP_2) | instid1(VALU_DEP_1)
	v_readfirstlane_b32 s6, v1
	v_sub_nc_u32_e32 v1, 0, v6
	s_mul_f32 s6, s6, 0x4f7ffffe
	v_max_i32_e32 v1, v6, v1
	s_delay_alu instid0(SALU_CYCLE_2) | instskip(NEXT) | instid1(SALU_CYCLE_3)
	s_cvt_u32_f32 s6, s6
	s_mul_i32 s7, s7, s6
	s_delay_alu instid0(SALU_CYCLE_1) | instskip(NEXT) | instid1(SALU_CYCLE_1)
	s_mul_hi_u32 s7, s6, s7
	s_add_co_i32 s6, s6, s7
	s_cmp_lg_u32 s10, 1
	v_mul_hi_u32 v7, v1, s6
	s_load_b64 s[6:7], s[0:1], 0x30
	s_delay_alu instid0(VALU_DEP_1) | instskip(NEXT) | instid1(VALU_DEP_1)
	v_mul_lo_u32 v7, v7, s14
	v_sub_nc_u32_e32 v1, v1, v7
	s_delay_alu instid0(VALU_DEP_1) | instskip(SKIP_1) | instid1(VALU_DEP_2)
	v_subrev_nc_u32_e32 v7, s14, v1
	v_cmp_le_u32_e32 vcc_lo, s14, v1
	v_dual_cndmask_b32 v1, v1, v7, vcc_lo :: v_dual_ashrrev_i32 v7, 31, v6
	s_delay_alu instid0(VALU_DEP_1) | instskip(SKIP_1) | instid1(VALU_DEP_2)
	v_subrev_nc_u32_e32 v9, s14, v1
	v_cmp_le_u32_e32 vcc_lo, s14, v1
	v_cndmask_b32_e32 v1, v1, v9, vcc_lo
	s_delay_alu instid0(VALU_DEP_1) | instskip(NEXT) | instid1(VALU_DEP_1)
	v_xor_b32_e32 v1, v1, v7
	v_sub_nc_u32_e32 v12, v1, v7
	s_delay_alu instid0(VALU_DEP_1)
	v_ashrrev_i32_e32 v13, 31, v12
	s_cbranch_scc0 .LBB17_11
; %bb.8:
	s_delay_alu instid0(VALU_DEP_1)
	v_mov_b64_e32 v[10:11], v[12:13]
	s_and_not1_b32 vcc_lo, exec_lo, s12
	s_cbranch_vccnz .LBB17_10
; %bb.9:
	s_wait_kmcnt 0x0
	v_mul_u64_e32 v[10:11], s[6:7], v[12:13]
.LBB17_10:
	s_mov_b32 s13, 0
.LBB17_11:
	s_delay_alu instid0(SALU_CYCLE_1)
	s_and_not1_b32 vcc_lo, exec_lo, s13
	s_cbranch_vccnz .LBB17_15
; %bb.12:
	s_and_not1_b32 vcc_lo, exec_lo, s8
	s_cbranch_vccnz .LBB17_14
; %bb.13:
	s_wait_kmcnt 0x0
	v_mul_u64_e32 v[12:13], s[6:7], v[12:13]
.LBB17_14:
	s_delay_alu instid0(VALU_DEP_1)
	v_mov_b64_e32 v[10:11], v[12:13]
.LBB17_15:
	s_cmp_eq_u32 s11, 1
	v_mov_b32_e32 v9, 0
	s_cselect_b32 s8, -1, 0
	s_cmp_eq_u32 s9, 0x6f
	s_cselect_b32 s10, -1, 0
	s_cmp_lg_u32 s9, 0x6f
	s_cselect_b32 s9, -1, 0
	s_cmp_lg_u32 s11, 1
	s_cbranch_scc0 .LBB17_19
; %bb.16:
	v_mov_b64_e32 v[12:13], v[8:9]
	s_and_not1_b32 vcc_lo, exec_lo, s9
	s_cbranch_vccnz .LBB17_18
; %bb.17:
	v_mul_u64_e32 v[12:13], s[4:5], v[8:9]
.LBB17_18:
	s_cbranch_execz .LBB17_20
	s_branch .LBB17_23
.LBB17_19:
                                        ; implicit-def: $vgpr12_vgpr13
.LBB17_20:
	s_and_not1_b32 vcc_lo, exec_lo, s10
	s_cbranch_vccnz .LBB17_22
; %bb.21:
	v_mul_u64_e32 v[8:9], s[4:5], v[8:9]
.LBB17_22:
	s_delay_alu instid0(VALU_DEP_1)
	v_mov_b64_e32 v[12:13], v[8:9]
.LBB17_23:
	s_cmp_lt_i32 s2, 1
	s_cbranch_scc1 .LBB17_26
; %bb.24:
	s_clause 0x1
	s_load_b64 s[14:15], s[0:1], 0x38
	s_load_b64 s[16:17], s[0:1], 0x28
	s_xor_b32 s3, s12, s3
	v_mov_b64_e32 v[8:9], 0
	s_and_b32 s3, s3, exec_lo
	s_wait_kmcnt 0x0
	s_cselect_b32 s7, 0, s7
	s_cselect_b32 s6, 1, s6
	s_xor_b32 s3, s10, s8
	s_delay_alu instid0(SALU_CYCLE_1) | instskip(SKIP_4) | instid1(VALU_DEP_2)
	s_and_b32 s3, s3, exec_lo
	s_cselect_b32 s9, s5, 0
	s_cselect_b32 s8, s4, 1
	s_lshl_b64 s[4:5], s[6:7], 3
	s_lshl_b64 s[6:7], s[8:9], 3
	v_lshl_add_u64 v[12:13], v[12:13], 3, s[14:15]
	v_lshl_add_u64 v[10:11], v[10:11], 3, s[16:17]
.LBB17_25:                              ; =>This Inner Loop Header: Depth=1
	global_load_b64 v[14:15], v[10:11], off
	global_load_b64 v[16:17], v[12:13], off
	s_wait_xcnt 0x1
	v_add_nc_u64_e32 v[10:11], s[4:5], v[10:11]
	s_wait_xcnt 0x0
	v_add_nc_u64_e32 v[12:13], s[6:7], v[12:13]
	s_add_co_i32 s2, s2, -1
	s_delay_alu instid0(SALU_CYCLE_1)
	s_cmp_eq_u32 s2, 0
	s_wait_loadcnt 0x0
	v_fmac_f64_e32 v[8:9], v[14:15], v[16:17]
	s_cbranch_scc0 .LBB17_25
	s_branch .LBB17_27
.LBB17_26:
	v_mov_b64_e32 v[8:9], 0
.LBB17_27:
	s_wait_xcnt 0x0
	s_load_b64 s[0:1], s[0:1], 0x50
	v_lshlrev_b32_e32 v10, 3, v0
	ds_store_b64 v10, v[8:9]
	s_wait_dscnt 0x0
	s_barrier_signal -1
	s_barrier_wait -1
	ds_load_b64 v[8:9], v10
	s_wait_kmcnt 0x0
	v_lshl_add_u64 v[0:1], v[6:7], 3, s[0:1]
	global_load_b64 v[6:7], v[0:1], off
	s_wait_dscnt 0x0
	v_mul_f64_e32 v[2:3], v[2:3], v[8:9]
	s_wait_loadcnt 0x0
	s_delay_alu instid0(VALU_DEP_1)
	v_fmac_f64_e32 v[2:3], v[4:5], v[6:7]
	global_store_b64 v[0:1], v[2:3], off
.LBB17_28:
	s_endpgm
	.section	.rodata,"a",@progbits
	.p2align	6, 0x0
	.amdhsa_kernel _ZN9rocsparseL16sddmm_ell_kernelILi512ELi1EdiidddEEv20rocsparse_operation_S1_16rocsparse_order_S2_T3_S3_S3_T2_NS_24const_host_device_scalarIT1_EEPKT4_lPKT5_lS7_PT6_PKS3_21rocsparse_index_base_b
		.amdhsa_group_segment_fixed_size 4096
		.amdhsa_private_segment_fixed_size 0
		.amdhsa_kernarg_size 104
		.amdhsa_user_sgpr_count 2
		.amdhsa_user_sgpr_dispatch_ptr 0
		.amdhsa_user_sgpr_queue_ptr 0
		.amdhsa_user_sgpr_kernarg_segment_ptr 1
		.amdhsa_user_sgpr_dispatch_id 0
		.amdhsa_user_sgpr_kernarg_preload_length 0
		.amdhsa_user_sgpr_kernarg_preload_offset 0
		.amdhsa_user_sgpr_private_segment_size 0
		.amdhsa_wavefront_size32 1
		.amdhsa_uses_dynamic_stack 0
		.amdhsa_enable_private_segment 0
		.amdhsa_system_sgpr_workgroup_id_x 1
		.amdhsa_system_sgpr_workgroup_id_y 0
		.amdhsa_system_sgpr_workgroup_id_z 0
		.amdhsa_system_sgpr_workgroup_info 0
		.amdhsa_system_vgpr_workitem_id 0
		.amdhsa_next_free_vgpr 18
		.amdhsa_next_free_sgpr 18
		.amdhsa_named_barrier_count 0
		.amdhsa_reserve_vcc 1
		.amdhsa_float_round_mode_32 0
		.amdhsa_float_round_mode_16_64 0
		.amdhsa_float_denorm_mode_32 3
		.amdhsa_float_denorm_mode_16_64 3
		.amdhsa_fp16_overflow 0
		.amdhsa_memory_ordered 1
		.amdhsa_forward_progress 1
		.amdhsa_inst_pref_size 8
		.amdhsa_round_robin_scheduling 0
		.amdhsa_exception_fp_ieee_invalid_op 0
		.amdhsa_exception_fp_denorm_src 0
		.amdhsa_exception_fp_ieee_div_zero 0
		.amdhsa_exception_fp_ieee_overflow 0
		.amdhsa_exception_fp_ieee_underflow 0
		.amdhsa_exception_fp_ieee_inexact 0
		.amdhsa_exception_int_div_zero 0
	.end_amdhsa_kernel
	.section	.text._ZN9rocsparseL16sddmm_ell_kernelILi512ELi1EdiidddEEv20rocsparse_operation_S1_16rocsparse_order_S2_T3_S3_S3_T2_NS_24const_host_device_scalarIT1_EEPKT4_lPKT5_lS7_PT6_PKS3_21rocsparse_index_base_b,"axG",@progbits,_ZN9rocsparseL16sddmm_ell_kernelILi512ELi1EdiidddEEv20rocsparse_operation_S1_16rocsparse_order_S2_T3_S3_S3_T2_NS_24const_host_device_scalarIT1_EEPKT4_lPKT5_lS7_PT6_PKS3_21rocsparse_index_base_b,comdat
.Lfunc_end17:
	.size	_ZN9rocsparseL16sddmm_ell_kernelILi512ELi1EdiidddEEv20rocsparse_operation_S1_16rocsparse_order_S2_T3_S3_S3_T2_NS_24const_host_device_scalarIT1_EEPKT4_lPKT5_lS7_PT6_PKS3_21rocsparse_index_base_b, .Lfunc_end17-_ZN9rocsparseL16sddmm_ell_kernelILi512ELi1EdiidddEEv20rocsparse_operation_S1_16rocsparse_order_S2_T3_S3_S3_T2_NS_24const_host_device_scalarIT1_EEPKT4_lPKT5_lS7_PT6_PKS3_21rocsparse_index_base_b
                                        ; -- End function
	.set _ZN9rocsparseL16sddmm_ell_kernelILi512ELi1EdiidddEEv20rocsparse_operation_S1_16rocsparse_order_S2_T3_S3_S3_T2_NS_24const_host_device_scalarIT1_EEPKT4_lPKT5_lS7_PT6_PKS3_21rocsparse_index_base_b.num_vgpr, 18
	.set _ZN9rocsparseL16sddmm_ell_kernelILi512ELi1EdiidddEEv20rocsparse_operation_S1_16rocsparse_order_S2_T3_S3_S3_T2_NS_24const_host_device_scalarIT1_EEPKT4_lPKT5_lS7_PT6_PKS3_21rocsparse_index_base_b.num_agpr, 0
	.set _ZN9rocsparseL16sddmm_ell_kernelILi512ELi1EdiidddEEv20rocsparse_operation_S1_16rocsparse_order_S2_T3_S3_S3_T2_NS_24const_host_device_scalarIT1_EEPKT4_lPKT5_lS7_PT6_PKS3_21rocsparse_index_base_b.numbered_sgpr, 18
	.set _ZN9rocsparseL16sddmm_ell_kernelILi512ELi1EdiidddEEv20rocsparse_operation_S1_16rocsparse_order_S2_T3_S3_S3_T2_NS_24const_host_device_scalarIT1_EEPKT4_lPKT5_lS7_PT6_PKS3_21rocsparse_index_base_b.num_named_barrier, 0
	.set _ZN9rocsparseL16sddmm_ell_kernelILi512ELi1EdiidddEEv20rocsparse_operation_S1_16rocsparse_order_S2_T3_S3_S3_T2_NS_24const_host_device_scalarIT1_EEPKT4_lPKT5_lS7_PT6_PKS3_21rocsparse_index_base_b.private_seg_size, 0
	.set _ZN9rocsparseL16sddmm_ell_kernelILi512ELi1EdiidddEEv20rocsparse_operation_S1_16rocsparse_order_S2_T3_S3_S3_T2_NS_24const_host_device_scalarIT1_EEPKT4_lPKT5_lS7_PT6_PKS3_21rocsparse_index_base_b.uses_vcc, 1
	.set _ZN9rocsparseL16sddmm_ell_kernelILi512ELi1EdiidddEEv20rocsparse_operation_S1_16rocsparse_order_S2_T3_S3_S3_T2_NS_24const_host_device_scalarIT1_EEPKT4_lPKT5_lS7_PT6_PKS3_21rocsparse_index_base_b.uses_flat_scratch, 0
	.set _ZN9rocsparseL16sddmm_ell_kernelILi512ELi1EdiidddEEv20rocsparse_operation_S1_16rocsparse_order_S2_T3_S3_S3_T2_NS_24const_host_device_scalarIT1_EEPKT4_lPKT5_lS7_PT6_PKS3_21rocsparse_index_base_b.has_dyn_sized_stack, 0
	.set _ZN9rocsparseL16sddmm_ell_kernelILi512ELi1EdiidddEEv20rocsparse_operation_S1_16rocsparse_order_S2_T3_S3_S3_T2_NS_24const_host_device_scalarIT1_EEPKT4_lPKT5_lS7_PT6_PKS3_21rocsparse_index_base_b.has_recursion, 0
	.set _ZN9rocsparseL16sddmm_ell_kernelILi512ELi1EdiidddEEv20rocsparse_operation_S1_16rocsparse_order_S2_T3_S3_S3_T2_NS_24const_host_device_scalarIT1_EEPKT4_lPKT5_lS7_PT6_PKS3_21rocsparse_index_base_b.has_indirect_call, 0
	.section	.AMDGPU.csdata,"",@progbits
; Kernel info:
; codeLenInByte = 920
; TotalNumSgprs: 20
; NumVgprs: 18
; ScratchSize: 0
; MemoryBound: 0
; FloatMode: 240
; IeeeMode: 1
; LDSByteSize: 4096 bytes/workgroup (compile time only)
; SGPRBlocks: 0
; VGPRBlocks: 1
; NumSGPRsForWavesPerEU: 20
; NumVGPRsForWavesPerEU: 18
; NamedBarCnt: 0
; Occupancy: 16
; WaveLimiterHint : 0
; COMPUTE_PGM_RSRC2:SCRATCH_EN: 0
; COMPUTE_PGM_RSRC2:USER_SGPR: 2
; COMPUTE_PGM_RSRC2:TRAP_HANDLER: 0
; COMPUTE_PGM_RSRC2:TGID_X_EN: 1
; COMPUTE_PGM_RSRC2:TGID_Y_EN: 0
; COMPUTE_PGM_RSRC2:TGID_Z_EN: 0
; COMPUTE_PGM_RSRC2:TIDIG_COMP_CNT: 0
	.section	.text._ZN9rocsparseL23sddmm_ell_sample_kernelILi16ELi32E21rocsparse_complex_numIfEiS2_EEvT2_S3_PKT3_lS3_PS4_PKS3_21rocsparse_index_base_,"axG",@progbits,_ZN9rocsparseL23sddmm_ell_sample_kernelILi16ELi32E21rocsparse_complex_numIfEiS2_EEvT2_S3_PKT3_lS3_PS4_PKS3_21rocsparse_index_base_,comdat
	.globl	_ZN9rocsparseL23sddmm_ell_sample_kernelILi16ELi32E21rocsparse_complex_numIfEiS2_EEvT2_S3_PKT3_lS3_PS4_PKS3_21rocsparse_index_base_ ; -- Begin function _ZN9rocsparseL23sddmm_ell_sample_kernelILi16ELi32E21rocsparse_complex_numIfEiS2_EEvT2_S3_PKT3_lS3_PS4_PKS3_21rocsparse_index_base_
	.p2align	8
	.type	_ZN9rocsparseL23sddmm_ell_sample_kernelILi16ELi32E21rocsparse_complex_numIfEiS2_EEvT2_S3_PKT3_lS3_PS4_PKS3_21rocsparse_index_base_,@function
_ZN9rocsparseL23sddmm_ell_sample_kernelILi16ELi32E21rocsparse_complex_numIfEiS2_EEvT2_S3_PKT3_lS3_PS4_PKS3_21rocsparse_index_base_: ; @_ZN9rocsparseL23sddmm_ell_sample_kernelILi16ELi32E21rocsparse_complex_numIfEiS2_EEvT2_S3_PKT3_lS3_PS4_PKS3_21rocsparse_index_base_
; %bb.0:
	s_load_b32 s2, s[0:1], 0x18
	s_bfe_u32 s3, ttmp6, 0x4000c
	s_and_b32 s4, ttmp6, 15
	s_add_co_i32 s3, s3, 1
	s_getreg_b32 s5, hwreg(HW_REG_IB_STS2, 6, 4)
	s_mul_i32 s3, ttmp9, s3
	v_lshrrev_b32_e32 v1, 5, v0
	s_add_co_i32 s4, s4, s3
	s_cmp_eq_u32 s5, 0
	s_cselect_b32 s3, ttmp9, s4
	s_delay_alu instid0(VALU_DEP_1) | instid1(SALU_CYCLE_1)
	v_lshl_or_b32 v2, s3, 4, v1
	s_wait_kmcnt 0x0
	s_delay_alu instid0(VALU_DEP_1)
	v_cmp_gt_u32_e32 vcc_lo, s2, v2
	s_and_saveexec_b32 s2, vcc_lo
	s_cbranch_execz .LBB18_6
; %bb.1:
	s_load_b64 s[2:3], s[0:1], 0x0
	v_and_b32_e32 v4, 31, v0
	s_wait_kmcnt 0x0
	s_delay_alu instid0(VALU_DEP_1)
	v_cmp_gt_i32_e32 vcc_lo, s2, v4
	s_and_b32 exec_lo, exec_lo, vcc_lo
	s_cbranch_execz .LBB18_6
; %bb.2:
	s_clause 0x2
	s_load_b128 s[12:15], s[0:1], 0x8
	s_load_b128 s[4:7], s[0:1], 0x20
	s_load_b32 s10, s[0:1], 0x30
	v_dual_mov_b32 v1, 0 :: v_dual_bitop2_b32 v0, 31, v0 bitop3:0x40
	v_mul_lo_u32 v5, v2, s2
	s_wait_xcnt 0x0
	s_mov_b32 s1, 0
	s_delay_alu instid0(VALU_DEP_2) | instskip(SKIP_1) | instid1(VALU_DEP_1)
	v_lshlrev_b32_e32 v0, 3, v0
	s_wait_kmcnt 0x0
	v_add_nc_u64_e32 v[2:3], s[12:13], v[0:1]
	s_lshl_b64 s[8:9], s[14:15], 3
	s_branch .LBB18_4
.LBB18_3:                               ;   in Loop: Header=BB18_4 Depth=1
	s_wait_xcnt 0x0
	s_or_b32 exec_lo, exec_lo, s0
	v_add_nc_u32_e32 v4, 32, v4
	v_add_nc_u64_e32 v[2:3], 0x100, v[2:3]
	s_delay_alu instid0(VALU_DEP_2) | instskip(SKIP_1) | instid1(SALU_CYCLE_1)
	v_cmp_le_i32_e32 vcc_lo, s2, v4
	s_or_b32 s1, vcc_lo, s1
	s_and_not1_b32 exec_lo, exec_lo, s1
	s_cbranch_execz .LBB18_6
.LBB18_4:                               ; =>This Inner Loop Header: Depth=1
	s_delay_alu instid0(VALU_DEP_3) | instskip(SKIP_3) | instid1(VALU_DEP_1)
	v_add_nc_u32_e32 v0, v5, v4
	global_load_b32 v6, v0, s[6:7] scale_offset
	s_wait_loadcnt 0x0
	v_subrev_nc_u32_e32 v6, s10, v6
	v_cmp_lt_i32_e32 vcc_lo, -1, v6
	v_cmp_gt_i32_e64 s0, s3, v6
	s_and_b32 s11, vcc_lo, s0
	s_wait_xcnt 0x0
	s_and_saveexec_b32 s0, s11
	s_cbranch_execz .LBB18_3
; %bb.5:                                ;   in Loop: Header=BB18_4 Depth=1
	v_mad_nc_u64_u32 v[8:9], s8, v6, v[2:3]
	s_delay_alu instid0(VALU_DEP_1)
	v_mad_u32 v9, s9, v6, v9
	global_load_b64 v[6:7], v[8:9], off
	s_wait_xcnt 0x0
	v_lshl_add_u64 v[8:9], v[0:1], 3, s[4:5]
	s_wait_loadcnt 0x0
	global_store_b64 v[8:9], v[6:7], off
	s_branch .LBB18_3
.LBB18_6:
	s_endpgm
	.section	.rodata,"a",@progbits
	.p2align	6, 0x0
	.amdhsa_kernel _ZN9rocsparseL23sddmm_ell_sample_kernelILi16ELi32E21rocsparse_complex_numIfEiS2_EEvT2_S3_PKT3_lS3_PS4_PKS3_21rocsparse_index_base_
		.amdhsa_group_segment_fixed_size 0
		.amdhsa_private_segment_fixed_size 0
		.amdhsa_kernarg_size 52
		.amdhsa_user_sgpr_count 2
		.amdhsa_user_sgpr_dispatch_ptr 0
		.amdhsa_user_sgpr_queue_ptr 0
		.amdhsa_user_sgpr_kernarg_segment_ptr 1
		.amdhsa_user_sgpr_dispatch_id 0
		.amdhsa_user_sgpr_kernarg_preload_length 0
		.amdhsa_user_sgpr_kernarg_preload_offset 0
		.amdhsa_user_sgpr_private_segment_size 0
		.amdhsa_wavefront_size32 1
		.amdhsa_uses_dynamic_stack 0
		.amdhsa_enable_private_segment 0
		.amdhsa_system_sgpr_workgroup_id_x 1
		.amdhsa_system_sgpr_workgroup_id_y 0
		.amdhsa_system_sgpr_workgroup_id_z 0
		.amdhsa_system_sgpr_workgroup_info 0
		.amdhsa_system_vgpr_workitem_id 0
		.amdhsa_next_free_vgpr 10
		.amdhsa_next_free_sgpr 16
		.amdhsa_named_barrier_count 0
		.amdhsa_reserve_vcc 1
		.amdhsa_float_round_mode_32 0
		.amdhsa_float_round_mode_16_64 0
		.amdhsa_float_denorm_mode_32 3
		.amdhsa_float_denorm_mode_16_64 3
		.amdhsa_fp16_overflow 0
		.amdhsa_memory_ordered 1
		.amdhsa_forward_progress 1
		.amdhsa_inst_pref_size 3
		.amdhsa_round_robin_scheduling 0
		.amdhsa_exception_fp_ieee_invalid_op 0
		.amdhsa_exception_fp_denorm_src 0
		.amdhsa_exception_fp_ieee_div_zero 0
		.amdhsa_exception_fp_ieee_overflow 0
		.amdhsa_exception_fp_ieee_underflow 0
		.amdhsa_exception_fp_ieee_inexact 0
		.amdhsa_exception_int_div_zero 0
	.end_amdhsa_kernel
	.section	.text._ZN9rocsparseL23sddmm_ell_sample_kernelILi16ELi32E21rocsparse_complex_numIfEiS2_EEvT2_S3_PKT3_lS3_PS4_PKS3_21rocsparse_index_base_,"axG",@progbits,_ZN9rocsparseL23sddmm_ell_sample_kernelILi16ELi32E21rocsparse_complex_numIfEiS2_EEvT2_S3_PKT3_lS3_PS4_PKS3_21rocsparse_index_base_,comdat
.Lfunc_end18:
	.size	_ZN9rocsparseL23sddmm_ell_sample_kernelILi16ELi32E21rocsparse_complex_numIfEiS2_EEvT2_S3_PKT3_lS3_PS4_PKS3_21rocsparse_index_base_, .Lfunc_end18-_ZN9rocsparseL23sddmm_ell_sample_kernelILi16ELi32E21rocsparse_complex_numIfEiS2_EEvT2_S3_PKT3_lS3_PS4_PKS3_21rocsparse_index_base_
                                        ; -- End function
	.set _ZN9rocsparseL23sddmm_ell_sample_kernelILi16ELi32E21rocsparse_complex_numIfEiS2_EEvT2_S3_PKT3_lS3_PS4_PKS3_21rocsparse_index_base_.num_vgpr, 10
	.set _ZN9rocsparseL23sddmm_ell_sample_kernelILi16ELi32E21rocsparse_complex_numIfEiS2_EEvT2_S3_PKT3_lS3_PS4_PKS3_21rocsparse_index_base_.num_agpr, 0
	.set _ZN9rocsparseL23sddmm_ell_sample_kernelILi16ELi32E21rocsparse_complex_numIfEiS2_EEvT2_S3_PKT3_lS3_PS4_PKS3_21rocsparse_index_base_.numbered_sgpr, 16
	.set _ZN9rocsparseL23sddmm_ell_sample_kernelILi16ELi32E21rocsparse_complex_numIfEiS2_EEvT2_S3_PKT3_lS3_PS4_PKS3_21rocsparse_index_base_.num_named_barrier, 0
	.set _ZN9rocsparseL23sddmm_ell_sample_kernelILi16ELi32E21rocsparse_complex_numIfEiS2_EEvT2_S3_PKT3_lS3_PS4_PKS3_21rocsparse_index_base_.private_seg_size, 0
	.set _ZN9rocsparseL23sddmm_ell_sample_kernelILi16ELi32E21rocsparse_complex_numIfEiS2_EEvT2_S3_PKT3_lS3_PS4_PKS3_21rocsparse_index_base_.uses_vcc, 1
	.set _ZN9rocsparseL23sddmm_ell_sample_kernelILi16ELi32E21rocsparse_complex_numIfEiS2_EEvT2_S3_PKT3_lS3_PS4_PKS3_21rocsparse_index_base_.uses_flat_scratch, 0
	.set _ZN9rocsparseL23sddmm_ell_sample_kernelILi16ELi32E21rocsparse_complex_numIfEiS2_EEvT2_S3_PKT3_lS3_PS4_PKS3_21rocsparse_index_base_.has_dyn_sized_stack, 0
	.set _ZN9rocsparseL23sddmm_ell_sample_kernelILi16ELi32E21rocsparse_complex_numIfEiS2_EEvT2_S3_PKT3_lS3_PS4_PKS3_21rocsparse_index_base_.has_recursion, 0
	.set _ZN9rocsparseL23sddmm_ell_sample_kernelILi16ELi32E21rocsparse_complex_numIfEiS2_EEvT2_S3_PKT3_lS3_PS4_PKS3_21rocsparse_index_base_.has_indirect_call, 0
	.section	.AMDGPU.csdata,"",@progbits
; Kernel info:
; codeLenInByte = 356
; TotalNumSgprs: 18
; NumVgprs: 10
; ScratchSize: 0
; MemoryBound: 0
; FloatMode: 240
; IeeeMode: 1
; LDSByteSize: 0 bytes/workgroup (compile time only)
; SGPRBlocks: 0
; VGPRBlocks: 0
; NumSGPRsForWavesPerEU: 18
; NumVGPRsForWavesPerEU: 10
; NamedBarCnt: 0
; Occupancy: 16
; WaveLimiterHint : 1
; COMPUTE_PGM_RSRC2:SCRATCH_EN: 0
; COMPUTE_PGM_RSRC2:USER_SGPR: 2
; COMPUTE_PGM_RSRC2:TRAP_HANDLER: 0
; COMPUTE_PGM_RSRC2:TGID_X_EN: 1
; COMPUTE_PGM_RSRC2:TGID_Y_EN: 0
; COMPUTE_PGM_RSRC2:TGID_Z_EN: 0
; COMPUTE_PGM_RSRC2:TIDIG_COMP_CNT: 0
	.section	.text._ZN9rocsparseL23sddmm_ell_sample_kernelILi16ELi64E21rocsparse_complex_numIfEiS2_EEvT2_S3_PKT3_lS3_PS4_PKS3_21rocsparse_index_base_,"axG",@progbits,_ZN9rocsparseL23sddmm_ell_sample_kernelILi16ELi64E21rocsparse_complex_numIfEiS2_EEvT2_S3_PKT3_lS3_PS4_PKS3_21rocsparse_index_base_,comdat
	.globl	_ZN9rocsparseL23sddmm_ell_sample_kernelILi16ELi64E21rocsparse_complex_numIfEiS2_EEvT2_S3_PKT3_lS3_PS4_PKS3_21rocsparse_index_base_ ; -- Begin function _ZN9rocsparseL23sddmm_ell_sample_kernelILi16ELi64E21rocsparse_complex_numIfEiS2_EEvT2_S3_PKT3_lS3_PS4_PKS3_21rocsparse_index_base_
	.p2align	8
	.type	_ZN9rocsparseL23sddmm_ell_sample_kernelILi16ELi64E21rocsparse_complex_numIfEiS2_EEvT2_S3_PKT3_lS3_PS4_PKS3_21rocsparse_index_base_,@function
_ZN9rocsparseL23sddmm_ell_sample_kernelILi16ELi64E21rocsparse_complex_numIfEiS2_EEvT2_S3_PKT3_lS3_PS4_PKS3_21rocsparse_index_base_: ; @_ZN9rocsparseL23sddmm_ell_sample_kernelILi16ELi64E21rocsparse_complex_numIfEiS2_EEvT2_S3_PKT3_lS3_PS4_PKS3_21rocsparse_index_base_
; %bb.0:
	s_load_b32 s2, s[0:1], 0x18
	s_bfe_u32 s3, ttmp6, 0x4000c
	s_and_b32 s4, ttmp6, 15
	s_add_co_i32 s3, s3, 1
	s_getreg_b32 s5, hwreg(HW_REG_IB_STS2, 6, 4)
	s_mul_i32 s3, ttmp9, s3
	v_lshrrev_b32_e32 v1, 6, v0
	s_add_co_i32 s4, s4, s3
	s_cmp_eq_u32 s5, 0
	s_cselect_b32 s3, ttmp9, s4
	s_delay_alu instid0(VALU_DEP_1) | instid1(SALU_CYCLE_1)
	v_lshl_or_b32 v2, s3, 4, v1
	s_wait_kmcnt 0x0
	s_delay_alu instid0(VALU_DEP_1)
	v_cmp_gt_u32_e32 vcc_lo, s2, v2
	s_and_saveexec_b32 s2, vcc_lo
	s_cbranch_execz .LBB19_6
; %bb.1:
	s_load_b64 s[2:3], s[0:1], 0x0
	v_and_b32_e32 v4, 63, v0
	s_wait_kmcnt 0x0
	s_delay_alu instid0(VALU_DEP_1)
	v_cmp_gt_i32_e32 vcc_lo, s2, v4
	s_and_b32 exec_lo, exec_lo, vcc_lo
	s_cbranch_execz .LBB19_6
; %bb.2:
	s_clause 0x2
	s_load_b128 s[12:15], s[0:1], 0x8
	s_load_b128 s[4:7], s[0:1], 0x20
	s_load_b32 s10, s[0:1], 0x30
	v_dual_mov_b32 v1, 0 :: v_dual_bitop2_b32 v0, 63, v0 bitop3:0x40
	v_mul_lo_u32 v5, v2, s2
	s_wait_xcnt 0x0
	s_mov_b32 s1, 0
	s_delay_alu instid0(VALU_DEP_2) | instskip(SKIP_1) | instid1(VALU_DEP_1)
	v_lshlrev_b32_e32 v0, 3, v0
	s_wait_kmcnt 0x0
	v_add_nc_u64_e32 v[2:3], s[12:13], v[0:1]
	s_lshl_b64 s[8:9], s[14:15], 3
	s_branch .LBB19_4
.LBB19_3:                               ;   in Loop: Header=BB19_4 Depth=1
	s_wait_xcnt 0x0
	s_or_b32 exec_lo, exec_lo, s0
	v_add_nc_u32_e32 v4, 64, v4
	v_add_nc_u64_e32 v[2:3], 0x200, v[2:3]
	s_delay_alu instid0(VALU_DEP_2) | instskip(SKIP_1) | instid1(SALU_CYCLE_1)
	v_cmp_le_i32_e32 vcc_lo, s2, v4
	s_or_b32 s1, vcc_lo, s1
	s_and_not1_b32 exec_lo, exec_lo, s1
	s_cbranch_execz .LBB19_6
.LBB19_4:                               ; =>This Inner Loop Header: Depth=1
	s_delay_alu instid0(VALU_DEP_3) | instskip(SKIP_3) | instid1(VALU_DEP_1)
	v_add_nc_u32_e32 v0, v5, v4
	global_load_b32 v6, v0, s[6:7] scale_offset
	s_wait_loadcnt 0x0
	v_subrev_nc_u32_e32 v6, s10, v6
	v_cmp_lt_i32_e32 vcc_lo, -1, v6
	v_cmp_gt_i32_e64 s0, s3, v6
	s_and_b32 s11, vcc_lo, s0
	s_wait_xcnt 0x0
	s_and_saveexec_b32 s0, s11
	s_cbranch_execz .LBB19_3
; %bb.5:                                ;   in Loop: Header=BB19_4 Depth=1
	v_mad_nc_u64_u32 v[8:9], s8, v6, v[2:3]
	s_delay_alu instid0(VALU_DEP_1)
	v_mad_u32 v9, s9, v6, v9
	global_load_b64 v[6:7], v[8:9], off
	s_wait_xcnt 0x0
	v_lshl_add_u64 v[8:9], v[0:1], 3, s[4:5]
	s_wait_loadcnt 0x0
	global_store_b64 v[8:9], v[6:7], off
	s_branch .LBB19_3
.LBB19_6:
	s_endpgm
	.section	.rodata,"a",@progbits
	.p2align	6, 0x0
	.amdhsa_kernel _ZN9rocsparseL23sddmm_ell_sample_kernelILi16ELi64E21rocsparse_complex_numIfEiS2_EEvT2_S3_PKT3_lS3_PS4_PKS3_21rocsparse_index_base_
		.amdhsa_group_segment_fixed_size 0
		.amdhsa_private_segment_fixed_size 0
		.amdhsa_kernarg_size 52
		.amdhsa_user_sgpr_count 2
		.amdhsa_user_sgpr_dispatch_ptr 0
		.amdhsa_user_sgpr_queue_ptr 0
		.amdhsa_user_sgpr_kernarg_segment_ptr 1
		.amdhsa_user_sgpr_dispatch_id 0
		.amdhsa_user_sgpr_kernarg_preload_length 0
		.amdhsa_user_sgpr_kernarg_preload_offset 0
		.amdhsa_user_sgpr_private_segment_size 0
		.amdhsa_wavefront_size32 1
		.amdhsa_uses_dynamic_stack 0
		.amdhsa_enable_private_segment 0
		.amdhsa_system_sgpr_workgroup_id_x 1
		.amdhsa_system_sgpr_workgroup_id_y 0
		.amdhsa_system_sgpr_workgroup_id_z 0
		.amdhsa_system_sgpr_workgroup_info 0
		.amdhsa_system_vgpr_workitem_id 0
		.amdhsa_next_free_vgpr 10
		.amdhsa_next_free_sgpr 16
		.amdhsa_named_barrier_count 0
		.amdhsa_reserve_vcc 1
		.amdhsa_float_round_mode_32 0
		.amdhsa_float_round_mode_16_64 0
		.amdhsa_float_denorm_mode_32 3
		.amdhsa_float_denorm_mode_16_64 3
		.amdhsa_fp16_overflow 0
		.amdhsa_memory_ordered 1
		.amdhsa_forward_progress 1
		.amdhsa_inst_pref_size 3
		.amdhsa_round_robin_scheduling 0
		.amdhsa_exception_fp_ieee_invalid_op 0
		.amdhsa_exception_fp_denorm_src 0
		.amdhsa_exception_fp_ieee_div_zero 0
		.amdhsa_exception_fp_ieee_overflow 0
		.amdhsa_exception_fp_ieee_underflow 0
		.amdhsa_exception_fp_ieee_inexact 0
		.amdhsa_exception_int_div_zero 0
	.end_amdhsa_kernel
	.section	.text._ZN9rocsparseL23sddmm_ell_sample_kernelILi16ELi64E21rocsparse_complex_numIfEiS2_EEvT2_S3_PKT3_lS3_PS4_PKS3_21rocsparse_index_base_,"axG",@progbits,_ZN9rocsparseL23sddmm_ell_sample_kernelILi16ELi64E21rocsparse_complex_numIfEiS2_EEvT2_S3_PKT3_lS3_PS4_PKS3_21rocsparse_index_base_,comdat
.Lfunc_end19:
	.size	_ZN9rocsparseL23sddmm_ell_sample_kernelILi16ELi64E21rocsparse_complex_numIfEiS2_EEvT2_S3_PKT3_lS3_PS4_PKS3_21rocsparse_index_base_, .Lfunc_end19-_ZN9rocsparseL23sddmm_ell_sample_kernelILi16ELi64E21rocsparse_complex_numIfEiS2_EEvT2_S3_PKT3_lS3_PS4_PKS3_21rocsparse_index_base_
                                        ; -- End function
	.set _ZN9rocsparseL23sddmm_ell_sample_kernelILi16ELi64E21rocsparse_complex_numIfEiS2_EEvT2_S3_PKT3_lS3_PS4_PKS3_21rocsparse_index_base_.num_vgpr, 10
	.set _ZN9rocsparseL23sddmm_ell_sample_kernelILi16ELi64E21rocsparse_complex_numIfEiS2_EEvT2_S3_PKT3_lS3_PS4_PKS3_21rocsparse_index_base_.num_agpr, 0
	.set _ZN9rocsparseL23sddmm_ell_sample_kernelILi16ELi64E21rocsparse_complex_numIfEiS2_EEvT2_S3_PKT3_lS3_PS4_PKS3_21rocsparse_index_base_.numbered_sgpr, 16
	.set _ZN9rocsparseL23sddmm_ell_sample_kernelILi16ELi64E21rocsparse_complex_numIfEiS2_EEvT2_S3_PKT3_lS3_PS4_PKS3_21rocsparse_index_base_.num_named_barrier, 0
	.set _ZN9rocsparseL23sddmm_ell_sample_kernelILi16ELi64E21rocsparse_complex_numIfEiS2_EEvT2_S3_PKT3_lS3_PS4_PKS3_21rocsparse_index_base_.private_seg_size, 0
	.set _ZN9rocsparseL23sddmm_ell_sample_kernelILi16ELi64E21rocsparse_complex_numIfEiS2_EEvT2_S3_PKT3_lS3_PS4_PKS3_21rocsparse_index_base_.uses_vcc, 1
	.set _ZN9rocsparseL23sddmm_ell_sample_kernelILi16ELi64E21rocsparse_complex_numIfEiS2_EEvT2_S3_PKT3_lS3_PS4_PKS3_21rocsparse_index_base_.uses_flat_scratch, 0
	.set _ZN9rocsparseL23sddmm_ell_sample_kernelILi16ELi64E21rocsparse_complex_numIfEiS2_EEvT2_S3_PKT3_lS3_PS4_PKS3_21rocsparse_index_base_.has_dyn_sized_stack, 0
	.set _ZN9rocsparseL23sddmm_ell_sample_kernelILi16ELi64E21rocsparse_complex_numIfEiS2_EEvT2_S3_PKT3_lS3_PS4_PKS3_21rocsparse_index_base_.has_recursion, 0
	.set _ZN9rocsparseL23sddmm_ell_sample_kernelILi16ELi64E21rocsparse_complex_numIfEiS2_EEvT2_S3_PKT3_lS3_PS4_PKS3_21rocsparse_index_base_.has_indirect_call, 0
	.section	.AMDGPU.csdata,"",@progbits
; Kernel info:
; codeLenInByte = 356
; TotalNumSgprs: 18
; NumVgprs: 10
; ScratchSize: 0
; MemoryBound: 0
; FloatMode: 240
; IeeeMode: 1
; LDSByteSize: 0 bytes/workgroup (compile time only)
; SGPRBlocks: 0
; VGPRBlocks: 0
; NumSGPRsForWavesPerEU: 18
; NumVGPRsForWavesPerEU: 10
; NamedBarCnt: 0
; Occupancy: 16
; WaveLimiterHint : 1
; COMPUTE_PGM_RSRC2:SCRATCH_EN: 0
; COMPUTE_PGM_RSRC2:USER_SGPR: 2
; COMPUTE_PGM_RSRC2:TRAP_HANDLER: 0
; COMPUTE_PGM_RSRC2:TGID_X_EN: 1
; COMPUTE_PGM_RSRC2:TGID_Y_EN: 0
; COMPUTE_PGM_RSRC2:TGID_Z_EN: 0
; COMPUTE_PGM_RSRC2:TIDIG_COMP_CNT: 0
	.section	.text._ZN9rocsparseL16sddmm_ell_kernelILi512ELi8E21rocsparse_complex_numIfEiiS2_S2_S2_EEv20rocsparse_operation_S3_16rocsparse_order_S4_T3_S5_S5_T2_NS_24const_host_device_scalarIT1_EEPKT4_lPKT5_lS9_PT6_PKS5_21rocsparse_index_base_b,"axG",@progbits,_ZN9rocsparseL16sddmm_ell_kernelILi512ELi8E21rocsparse_complex_numIfEiiS2_S2_S2_EEv20rocsparse_operation_S3_16rocsparse_order_S4_T3_S5_S5_T2_NS_24const_host_device_scalarIT1_EEPKT4_lPKT5_lS9_PT6_PKS5_21rocsparse_index_base_b,comdat
	.globl	_ZN9rocsparseL16sddmm_ell_kernelILi512ELi8E21rocsparse_complex_numIfEiiS2_S2_S2_EEv20rocsparse_operation_S3_16rocsparse_order_S4_T3_S5_S5_T2_NS_24const_host_device_scalarIT1_EEPKT4_lPKT5_lS9_PT6_PKS5_21rocsparse_index_base_b ; -- Begin function _ZN9rocsparseL16sddmm_ell_kernelILi512ELi8E21rocsparse_complex_numIfEiiS2_S2_S2_EEv20rocsparse_operation_S3_16rocsparse_order_S4_T3_S5_S5_T2_NS_24const_host_device_scalarIT1_EEPKT4_lPKT5_lS9_PT6_PKS5_21rocsparse_index_base_b
	.p2align	8
	.type	_ZN9rocsparseL16sddmm_ell_kernelILi512ELi8E21rocsparse_complex_numIfEiiS2_S2_S2_EEv20rocsparse_operation_S3_16rocsparse_order_S4_T3_S5_S5_T2_NS_24const_host_device_scalarIT1_EEPKT4_lPKT5_lS9_PT6_PKS5_21rocsparse_index_base_b,@function
_ZN9rocsparseL16sddmm_ell_kernelILi512ELi8E21rocsparse_complex_numIfEiiS2_S2_S2_EEv20rocsparse_operation_S3_16rocsparse_order_S4_T3_S5_S5_T2_NS_24const_host_device_scalarIT1_EEPKT4_lPKT5_lS9_PT6_PKS5_21rocsparse_index_base_b: ; @_ZN9rocsparseL16sddmm_ell_kernelILi512ELi8E21rocsparse_complex_numIfEiiS2_S2_S2_EEv20rocsparse_operation_S3_16rocsparse_order_S4_T3_S5_S5_T2_NS_24const_host_device_scalarIT1_EEPKT4_lPKT5_lS9_PT6_PKS5_21rocsparse_index_base_b
; %bb.0:
	s_clause 0x2
	s_load_b64 s[8:9], s[0:1], 0x60
	s_load_b64 s[2:3], s[0:1], 0x20
	s_load_b128 s[4:7], s[0:1], 0x40
	v_mov_b32_e32 v1, 0
	s_add_nc_u64 s[10:11], s[0:1], 32
	s_wait_kmcnt 0x0
	s_bitcmp1_b32 s9, 0
	s_cselect_b32 s3, s11, s3
	s_cselect_b32 s2, s10, s2
	flat_load_b64 v[2:3], v1, s[2:3]
	s_wait_xcnt 0x0
	s_add_nc_u64 s[2:3], s[0:1], 0x48
	s_delay_alu instid0(SALU_CYCLE_1)
	s_cselect_b32 s3, s3, s7
	s_cselect_b32 s2, s2, s6
	flat_load_b64 v[4:5], v1, s[2:3]
	s_wait_xcnt 0x0
	s_mov_b32 s2, -1
	s_mov_b32 s3, exec_lo
	s_wait_loadcnt_dscnt 0x101
	v_bitop3_b32 v1, v2, 0x7fffffff, v3 bitop3:0xc8
	s_delay_alu instid0(VALU_DEP_1)
	v_cmpx_eq_u32_e32 0, v1
	s_cbranch_execz .LBB20_2
; %bb.1:
	s_wait_loadcnt_dscnt 0x0
	v_cmp_neq_f32_e32 vcc_lo, 1.0, v4
	v_cmp_neq_f32_e64 s2, 0, v5
	s_or_b32 s2, vcc_lo, s2
	s_delay_alu instid0(SALU_CYCLE_1)
	s_or_not1_b32 s2, s2, exec_lo
.LBB20_2:
	s_or_b32 exec_lo, exec_lo, s3
	s_and_saveexec_b32 s3, s2
	s_cbranch_execz .LBB20_33
; %bb.3:
	s_load_b64 s[2:3], s[0:1], 0x18
	s_bfe_u32 s6, ttmp6, 0x4000c
	s_and_b32 s7, ttmp6, 15
	s_add_co_i32 s6, s6, 1
	s_getreg_b32 s9, hwreg(HW_REG_IB_STS2, 6, 4)
	s_mul_i32 s6, ttmp9, s6
	v_lshrrev_b32_e32 v14, 3, v0
	s_add_co_i32 s7, s7, s6
	s_cmp_eq_u32 s9, 0
	s_cselect_b32 s6, ttmp9, s7
	s_delay_alu instid0(VALU_DEP_1) | instid1(SALU_CYCLE_1)
	v_lshl_or_b32 v6, s6, 6, v14
	s_wait_kmcnt 0x0
	s_delay_alu instid0(VALU_DEP_1)
	v_cmp_gt_i32_e32 vcc_lo, s3, v6
	s_and_b32 exec_lo, exec_lo, vcc_lo
	s_cbranch_execz .LBB20_33
; %bb.4:
	s_load_b64 s[6:7], s[0:1], 0x58
	s_mov_b32 s13, -1
	s_wait_kmcnt 0x0
	global_load_b32 v1, v6, s[6:7] scale_offset
	s_wait_loadcnt 0x0
	v_subrev_nc_u32_e32 v8, s8, v1
	s_delay_alu instid0(VALU_DEP_1)
	v_cmp_lt_i32_e32 vcc_lo, -1, v8
	s_and_b32 exec_lo, exec_lo, vcc_lo
	s_cbranch_execz .LBB20_33
; %bb.5:
	s_clause 0x1
	s_load_b128 s[8:11], s[0:1], 0x0
	s_load_b32 s6, s[0:1], 0x10
                                        ; implicit-def: $vgpr10_vgpr11
	s_wait_kmcnt 0x0
	s_cmp_eq_u32 s10, 1
	s_cselect_b32 s3, -1, 0
	s_cmp_eq_u32 s8, 0x6f
	s_cselect_b32 s12, -1, 0
	s_cmp_lg_u32 s8, 0x6f
	s_cselect_b32 s8, -1, 0
	s_abs_i32 s14, s6
	s_delay_alu instid0(SALU_CYCLE_1) | instskip(SKIP_1) | instid1(SALU_CYCLE_2)
	s_cvt_f32_u32 s6, s14
	s_sub_co_i32 s7, 0, s14
	v_rcp_iflag_f32_e32 v1, s6
	v_nop
	s_delay_alu instid0(TRANS32_DEP_1) | instskip(SKIP_2) | instid1(VALU_DEP_1)
	v_readfirstlane_b32 s6, v1
	v_sub_nc_u32_e32 v1, 0, v6
	s_mul_f32 s6, s6, 0x4f7ffffe
	v_max_i32_e32 v1, v6, v1
	s_delay_alu instid0(SALU_CYCLE_2) | instskip(NEXT) | instid1(SALU_CYCLE_3)
	s_cvt_u32_f32 s6, s6
	s_mul_i32 s7, s7, s6
	s_delay_alu instid0(SALU_CYCLE_1) | instskip(NEXT) | instid1(SALU_CYCLE_1)
	s_mul_hi_u32 s7, s6, s7
	s_add_co_i32 s6, s6, s7
	s_cmp_lg_u32 s10, 1
	v_mul_hi_u32 v7, v1, s6
	s_load_b64 s[6:7], s[0:1], 0x30
	s_delay_alu instid0(VALU_DEP_1) | instskip(NEXT) | instid1(VALU_DEP_1)
	v_mul_lo_u32 v7, v7, s14
	v_sub_nc_u32_e32 v1, v1, v7
	s_delay_alu instid0(VALU_DEP_1) | instskip(SKIP_1) | instid1(VALU_DEP_2)
	v_subrev_nc_u32_e32 v7, s14, v1
	v_cmp_le_u32_e32 vcc_lo, s14, v1
	v_dual_cndmask_b32 v1, v1, v7, vcc_lo :: v_dual_ashrrev_i32 v7, 31, v6
	s_delay_alu instid0(VALU_DEP_1) | instskip(SKIP_1) | instid1(VALU_DEP_2)
	v_subrev_nc_u32_e32 v9, s14, v1
	v_cmp_le_u32_e32 vcc_lo, s14, v1
	v_cndmask_b32_e32 v1, v1, v9, vcc_lo
	s_delay_alu instid0(VALU_DEP_1) | instskip(NEXT) | instid1(VALU_DEP_1)
	v_xor_b32_e32 v1, v1, v7
	v_sub_nc_u32_e32 v12, v1, v7
	s_delay_alu instid0(VALU_DEP_1)
	v_ashrrev_i32_e32 v13, 31, v12
	s_cbranch_scc0 .LBB20_9
; %bb.6:
	s_delay_alu instid0(VALU_DEP_1)
	v_mov_b64_e32 v[10:11], v[12:13]
	s_and_not1_b32 vcc_lo, exec_lo, s12
	s_cbranch_vccnz .LBB20_8
; %bb.7:
	s_wait_kmcnt 0x0
	v_mul_u64_e32 v[10:11], s[6:7], v[12:13]
.LBB20_8:
	s_mov_b32 s13, 0
.LBB20_9:
	s_delay_alu instid0(SALU_CYCLE_1)
	s_and_not1_b32 vcc_lo, exec_lo, s13
	s_cbranch_vccnz .LBB20_13
; %bb.10:
	s_and_not1_b32 vcc_lo, exec_lo, s8
	s_cbranch_vccnz .LBB20_12
; %bb.11:
	s_wait_kmcnt 0x0
	v_mul_u64_e32 v[12:13], s[6:7], v[12:13]
.LBB20_12:
	s_delay_alu instid0(VALU_DEP_1)
	v_mov_b64_e32 v[10:11], v[12:13]
.LBB20_13:
	s_cmp_eq_u32 s11, 1
	v_mov_b32_e32 v9, 0
	s_cselect_b32 s10, -1, 0
	s_cmp_eq_u32 s9, 0x6f
	s_cselect_b32 s13, -1, 0
	s_cmp_lg_u32 s9, 0x6f
	s_cselect_b32 s8, -1, 0
	s_cmp_lg_u32 s11, 1
	s_cbranch_scc0 .LBB20_17
; %bb.14:
	v_mov_b64_e32 v[12:13], v[8:9]
	s_and_not1_b32 vcc_lo, exec_lo, s8
	s_cbranch_vccnz .LBB20_16
; %bb.15:
	v_mul_u64_e32 v[12:13], s[4:5], v[8:9]
.LBB20_16:
	s_cbranch_execz .LBB20_18
	s_branch .LBB20_21
.LBB20_17:
                                        ; implicit-def: $vgpr12_vgpr13
.LBB20_18:
	s_and_not1_b32 vcc_lo, exec_lo, s13
	s_cbranch_vccnz .LBB20_20
; %bb.19:
	v_mul_u64_e32 v[8:9], s[4:5], v[8:9]
.LBB20_20:
	s_delay_alu instid0(VALU_DEP_1)
	v_mov_b64_e32 v[12:13], v[8:9]
.LBB20_21:
	v_dual_mov_b32 v9, 0 :: v_dual_bitop2_b32 v15, 7, v0 bitop3:0x40
	s_mov_b32 s8, exec_lo
	s_delay_alu instid0(VALU_DEP_1) | instskip(NEXT) | instid1(VALU_DEP_2)
	v_mov_b32_e32 v8, v9
	v_cmpx_gt_i32_e64 s2, v15
	s_cbranch_execz .LBB20_25
; %bb.22:
	s_xor_b32 s3, s12, s3
	v_dual_mov_b32 v9, 0 :: v_dual_bitop2_b32 v8, 7, v0 bitop3:0x40
	s_and_b32 s3, s3, exec_lo
	s_wait_kmcnt 0x0
	s_cselect_b32 s7, 0, s7
	s_cselect_b32 s6, 1, s6
	s_xor_b32 s3, s13, s10
	v_mul_u64_e32 v[16:17], s[6:7], v[8:9]
	s_and_b32 s3, s3, exec_lo
	s_cselect_b32 s11, s5, 0
	s_cselect_b32 s10, s4, 1
	s_clause 0x1
	s_load_b64 s[4:5], s[0:1], 0x38
	s_load_b64 s[12:13], s[0:1], 0x28
	v_mul_u64_e32 v[0:1], s[10:11], v[8:9]
	v_lshlrev_b64_e32 v[12:13], 3, v[12:13]
	v_lshlrev_b64_e32 v[10:11], 3, v[10:11]
	s_mov_b32 s3, 0
	v_mov_b32_e32 v8, v9
	s_delay_alu instid0(VALU_DEP_3) | instskip(SKIP_1) | instid1(VALU_DEP_1)
	v_lshl_add_u64 v[0:1], v[0:1], 3, v[12:13]
	s_wait_kmcnt 0x0
	v_add_nc_u64_e32 v[12:13], s[4:5], v[0:1]
	s_delay_alu instid0(VALU_DEP_4) | instskip(SKIP_2) | instid1(VALU_DEP_1)
	v_lshl_add_u64 v[0:1], v[16:17], 3, v[10:11]
	s_lshl_b64 s[4:5], s[6:7], 6
	s_lshl_b64 s[6:7], s[10:11], 6
	v_add_nc_u64_e32 v[0:1], s[12:13], v[0:1]
	s_delay_alu instid0(VALU_DEP_3)
	v_add_nc_u64_e32 v[10:11], 4, v[12:13]
	v_mov_b32_e32 v12, v15
.LBB20_23:                              ; =>This Inner Loop Header: Depth=1
	global_load_b64 v[16:17], v[0:1], off
	global_load_b64 v[18:19], v[10:11], off offset:-4
	v_add_nc_u32_e32 v12, 8, v12
	s_wait_xcnt 0x1
	v_add_nc_u64_e32 v[0:1], s[4:5], v[0:1]
	s_wait_xcnt 0x0
	v_add_nc_u64_e32 v[10:11], s[6:7], v[10:11]
	v_cmp_le_i32_e32 vcc_lo, s2, v12
	s_or_b32 s3, vcc_lo, s3
	s_wait_loadcnt 0x0
	v_pk_mul_f32 v[20:21], v[18:19], v[16:17] op_sel:[1,1] op_sel_hi:[1,0] neg_lo:[0,1]
	s_delay_alu instid0(VALU_DEP_1) | instskip(NEXT) | instid1(VALU_DEP_1)
	v_pk_fma_f32 v[16:17], v[16:17], v[18:19], v[20:21] op_sel_hi:[1,0,1]
	v_pk_add_f32 v[8:9], v[8:9], v[16:17]
	s_and_not1_b32 exec_lo, exec_lo, s3
	s_cbranch_execnz .LBB20_23
; %bb.24:
	s_or_b32 exec_lo, exec_lo, s3
.LBB20_25:
	s_delay_alu instid0(SALU_CYCLE_1) | instskip(SKIP_4) | instid1(VALU_DEP_1)
	s_or_b32 exec_lo, exec_lo, s8
	s_wait_xcnt 0x0
	s_load_b64 s[0:1], s[0:1], 0x50
	v_lshlrev_b32_e32 v0, 6, v14
	s_mov_b32 s2, exec_lo
	v_lshl_or_b32 v1, v15, 3, v0
	ds_store_b64 v1, v[8:9]
	s_wait_dscnt 0x0
	s_barrier_signal -1
	s_barrier_wait -1
	v_cmpx_gt_u32_e32 4, v15
	s_cbranch_execz .LBB20_27
; %bb.26:
	ds_load_2addr_b64 v[8:11], v1 offset1:4
	s_wait_dscnt 0x0
	v_pk_add_f32 v[8:9], v[10:11], v[8:9]
	ds_store_b64 v1, v[8:9]
.LBB20_27:
	s_or_b32 exec_lo, exec_lo, s2
	s_delay_alu instid0(SALU_CYCLE_1)
	s_mov_b32 s2, exec_lo
	s_wait_dscnt 0x0
	s_barrier_signal -1
	s_barrier_wait -1
	v_cmpx_gt_u32_e32 2, v15
	s_cbranch_execz .LBB20_29
; %bb.28:
	ds_load_2addr_b64 v[8:11], v1 offset1:2
	s_wait_dscnt 0x0
	v_pk_add_f32 v[8:9], v[10:11], v[8:9]
	ds_store_b64 v1, v[8:9]
.LBB20_29:
	s_or_b32 exec_lo, exec_lo, s2
	v_cmp_eq_u32_e32 vcc_lo, 0, v15
	s_wait_dscnt 0x0
	s_barrier_signal -1
	s_barrier_wait -1
	s_and_saveexec_b32 s2, vcc_lo
	s_cbranch_execz .LBB20_31
; %bb.30:
	ds_load_2addr_b64 v[8:11], v1 offset1:1
	s_wait_dscnt 0x0
	v_pk_add_f32 v[8:9], v[10:11], v[8:9]
	ds_store_b64 v1, v[8:9]
.LBB20_31:
	s_or_b32 exec_lo, exec_lo, s2
	s_wait_dscnt 0x0
	s_barrier_signal -1
	s_barrier_wait -1
	s_and_b32 exec_lo, exec_lo, vcc_lo
	s_cbranch_execz .LBB20_33
; %bb.32:
	s_wait_kmcnt 0x0
	v_lshl_add_u64 v[6:7], v[6:7], 3, s[0:1]
	ds_load_b64 v[0:1], v0
	v_mov_b32_e32 v10, v5
	global_load_b64 v[8:9], v[6:7], off
	s_wait_dscnt 0x0
	v_pk_mul_f32 v[12:13], v[0:1], v[2:3] op_sel:[1,1] op_sel_hi:[1,0] neg_lo:[0,1]
	s_delay_alu instid0(VALU_DEP_1) | instskip(SKIP_2) | instid1(VALU_DEP_1)
	v_pk_fma_f32 v[0:1], v[2:3], v[0:1], v[12:13] op_sel_hi:[1,0,1]
	s_wait_loadcnt 0x0
	v_pk_mul_f32 v[10:11], v[10:11], v[8:9] op_sel:[0,1] op_sel_hi:[0,0] neg_lo:[0,1]
	v_pk_fma_f32 v[4:5], v[8:9], v[4:5], v[10:11] op_sel_hi:[1,0,1]
	s_delay_alu instid0(VALU_DEP_1)
	v_pk_add_f32 v[0:1], v[0:1], v[4:5]
	global_store_b64 v[6:7], v[0:1], off
.LBB20_33:
	s_endpgm
	.section	.rodata,"a",@progbits
	.p2align	6, 0x0
	.amdhsa_kernel _ZN9rocsparseL16sddmm_ell_kernelILi512ELi8E21rocsparse_complex_numIfEiiS2_S2_S2_EEv20rocsparse_operation_S3_16rocsparse_order_S4_T3_S5_S5_T2_NS_24const_host_device_scalarIT1_EEPKT4_lPKT5_lS9_PT6_PKS5_21rocsparse_index_base_b
		.amdhsa_group_segment_fixed_size 4096
		.amdhsa_private_segment_fixed_size 0
		.amdhsa_kernarg_size 104
		.amdhsa_user_sgpr_count 2
		.amdhsa_user_sgpr_dispatch_ptr 0
		.amdhsa_user_sgpr_queue_ptr 0
		.amdhsa_user_sgpr_kernarg_segment_ptr 1
		.amdhsa_user_sgpr_dispatch_id 0
		.amdhsa_user_sgpr_kernarg_preload_length 0
		.amdhsa_user_sgpr_kernarg_preload_offset 0
		.amdhsa_user_sgpr_private_segment_size 0
		.amdhsa_wavefront_size32 1
		.amdhsa_uses_dynamic_stack 0
		.amdhsa_enable_private_segment 0
		.amdhsa_system_sgpr_workgroup_id_x 1
		.amdhsa_system_sgpr_workgroup_id_y 0
		.amdhsa_system_sgpr_workgroup_id_z 0
		.amdhsa_system_sgpr_workgroup_info 0
		.amdhsa_system_vgpr_workitem_id 0
		.amdhsa_next_free_vgpr 22
		.amdhsa_next_free_sgpr 15
		.amdhsa_named_barrier_count 0
		.amdhsa_reserve_vcc 1
		.amdhsa_float_round_mode_32 0
		.amdhsa_float_round_mode_16_64 0
		.amdhsa_float_denorm_mode_32 3
		.amdhsa_float_denorm_mode_16_64 3
		.amdhsa_fp16_overflow 0
		.amdhsa_memory_ordered 1
		.amdhsa_forward_progress 1
		.amdhsa_inst_pref_size 11
		.amdhsa_round_robin_scheduling 0
		.amdhsa_exception_fp_ieee_invalid_op 0
		.amdhsa_exception_fp_denorm_src 0
		.amdhsa_exception_fp_ieee_div_zero 0
		.amdhsa_exception_fp_ieee_overflow 0
		.amdhsa_exception_fp_ieee_underflow 0
		.amdhsa_exception_fp_ieee_inexact 0
		.amdhsa_exception_int_div_zero 0
	.end_amdhsa_kernel
	.section	.text._ZN9rocsparseL16sddmm_ell_kernelILi512ELi8E21rocsparse_complex_numIfEiiS2_S2_S2_EEv20rocsparse_operation_S3_16rocsparse_order_S4_T3_S5_S5_T2_NS_24const_host_device_scalarIT1_EEPKT4_lPKT5_lS9_PT6_PKS5_21rocsparse_index_base_b,"axG",@progbits,_ZN9rocsparseL16sddmm_ell_kernelILi512ELi8E21rocsparse_complex_numIfEiiS2_S2_S2_EEv20rocsparse_operation_S3_16rocsparse_order_S4_T3_S5_S5_T2_NS_24const_host_device_scalarIT1_EEPKT4_lPKT5_lS9_PT6_PKS5_21rocsparse_index_base_b,comdat
.Lfunc_end20:
	.size	_ZN9rocsparseL16sddmm_ell_kernelILi512ELi8E21rocsparse_complex_numIfEiiS2_S2_S2_EEv20rocsparse_operation_S3_16rocsparse_order_S4_T3_S5_S5_T2_NS_24const_host_device_scalarIT1_EEPKT4_lPKT5_lS9_PT6_PKS5_21rocsparse_index_base_b, .Lfunc_end20-_ZN9rocsparseL16sddmm_ell_kernelILi512ELi8E21rocsparse_complex_numIfEiiS2_S2_S2_EEv20rocsparse_operation_S3_16rocsparse_order_S4_T3_S5_S5_T2_NS_24const_host_device_scalarIT1_EEPKT4_lPKT5_lS9_PT6_PKS5_21rocsparse_index_base_b
                                        ; -- End function
	.set _ZN9rocsparseL16sddmm_ell_kernelILi512ELi8E21rocsparse_complex_numIfEiiS2_S2_S2_EEv20rocsparse_operation_S3_16rocsparse_order_S4_T3_S5_S5_T2_NS_24const_host_device_scalarIT1_EEPKT4_lPKT5_lS9_PT6_PKS5_21rocsparse_index_base_b.num_vgpr, 22
	.set _ZN9rocsparseL16sddmm_ell_kernelILi512ELi8E21rocsparse_complex_numIfEiiS2_S2_S2_EEv20rocsparse_operation_S3_16rocsparse_order_S4_T3_S5_S5_T2_NS_24const_host_device_scalarIT1_EEPKT4_lPKT5_lS9_PT6_PKS5_21rocsparse_index_base_b.num_agpr, 0
	.set _ZN9rocsparseL16sddmm_ell_kernelILi512ELi8E21rocsparse_complex_numIfEiiS2_S2_S2_EEv20rocsparse_operation_S3_16rocsparse_order_S4_T3_S5_S5_T2_NS_24const_host_device_scalarIT1_EEPKT4_lPKT5_lS9_PT6_PKS5_21rocsparse_index_base_b.numbered_sgpr, 15
	.set _ZN9rocsparseL16sddmm_ell_kernelILi512ELi8E21rocsparse_complex_numIfEiiS2_S2_S2_EEv20rocsparse_operation_S3_16rocsparse_order_S4_T3_S5_S5_T2_NS_24const_host_device_scalarIT1_EEPKT4_lPKT5_lS9_PT6_PKS5_21rocsparse_index_base_b.num_named_barrier, 0
	.set _ZN9rocsparseL16sddmm_ell_kernelILi512ELi8E21rocsparse_complex_numIfEiiS2_S2_S2_EEv20rocsparse_operation_S3_16rocsparse_order_S4_T3_S5_S5_T2_NS_24const_host_device_scalarIT1_EEPKT4_lPKT5_lS9_PT6_PKS5_21rocsparse_index_base_b.private_seg_size, 0
	.set _ZN9rocsparseL16sddmm_ell_kernelILi512ELi8E21rocsparse_complex_numIfEiiS2_S2_S2_EEv20rocsparse_operation_S3_16rocsparse_order_S4_T3_S5_S5_T2_NS_24const_host_device_scalarIT1_EEPKT4_lPKT5_lS9_PT6_PKS5_21rocsparse_index_base_b.uses_vcc, 1
	.set _ZN9rocsparseL16sddmm_ell_kernelILi512ELi8E21rocsparse_complex_numIfEiiS2_S2_S2_EEv20rocsparse_operation_S3_16rocsparse_order_S4_T3_S5_S5_T2_NS_24const_host_device_scalarIT1_EEPKT4_lPKT5_lS9_PT6_PKS5_21rocsparse_index_base_b.uses_flat_scratch, 0
	.set _ZN9rocsparseL16sddmm_ell_kernelILi512ELi8E21rocsparse_complex_numIfEiiS2_S2_S2_EEv20rocsparse_operation_S3_16rocsparse_order_S4_T3_S5_S5_T2_NS_24const_host_device_scalarIT1_EEPKT4_lPKT5_lS9_PT6_PKS5_21rocsparse_index_base_b.has_dyn_sized_stack, 0
	.set _ZN9rocsparseL16sddmm_ell_kernelILi512ELi8E21rocsparse_complex_numIfEiiS2_S2_S2_EEv20rocsparse_operation_S3_16rocsparse_order_S4_T3_S5_S5_T2_NS_24const_host_device_scalarIT1_EEPKT4_lPKT5_lS9_PT6_PKS5_21rocsparse_index_base_b.has_recursion, 0
	.set _ZN9rocsparseL16sddmm_ell_kernelILi512ELi8E21rocsparse_complex_numIfEiiS2_S2_S2_EEv20rocsparse_operation_S3_16rocsparse_order_S4_T3_S5_S5_T2_NS_24const_host_device_scalarIT1_EEPKT4_lPKT5_lS9_PT6_PKS5_21rocsparse_index_base_b.has_indirect_call, 0
	.section	.AMDGPU.csdata,"",@progbits
; Kernel info:
; codeLenInByte = 1312
; TotalNumSgprs: 17
; NumVgprs: 22
; ScratchSize: 0
; MemoryBound: 0
; FloatMode: 240
; IeeeMode: 1
; LDSByteSize: 4096 bytes/workgroup (compile time only)
; SGPRBlocks: 0
; VGPRBlocks: 1
; NumSGPRsForWavesPerEU: 17
; NumVGPRsForWavesPerEU: 22
; NamedBarCnt: 0
; Occupancy: 16
; WaveLimiterHint : 0
; COMPUTE_PGM_RSRC2:SCRATCH_EN: 0
; COMPUTE_PGM_RSRC2:USER_SGPR: 2
; COMPUTE_PGM_RSRC2:TRAP_HANDLER: 0
; COMPUTE_PGM_RSRC2:TGID_X_EN: 1
; COMPUTE_PGM_RSRC2:TGID_Y_EN: 0
; COMPUTE_PGM_RSRC2:TGID_Z_EN: 0
; COMPUTE_PGM_RSRC2:TIDIG_COMP_CNT: 0
	.section	.text._ZN9rocsparseL16sddmm_ell_kernelILi512ELi4E21rocsparse_complex_numIfEiiS2_S2_S2_EEv20rocsparse_operation_S3_16rocsparse_order_S4_T3_S5_S5_T2_NS_24const_host_device_scalarIT1_EEPKT4_lPKT5_lS9_PT6_PKS5_21rocsparse_index_base_b,"axG",@progbits,_ZN9rocsparseL16sddmm_ell_kernelILi512ELi4E21rocsparse_complex_numIfEiiS2_S2_S2_EEv20rocsparse_operation_S3_16rocsparse_order_S4_T3_S5_S5_T2_NS_24const_host_device_scalarIT1_EEPKT4_lPKT5_lS9_PT6_PKS5_21rocsparse_index_base_b,comdat
	.globl	_ZN9rocsparseL16sddmm_ell_kernelILi512ELi4E21rocsparse_complex_numIfEiiS2_S2_S2_EEv20rocsparse_operation_S3_16rocsparse_order_S4_T3_S5_S5_T2_NS_24const_host_device_scalarIT1_EEPKT4_lPKT5_lS9_PT6_PKS5_21rocsparse_index_base_b ; -- Begin function _ZN9rocsparseL16sddmm_ell_kernelILi512ELi4E21rocsparse_complex_numIfEiiS2_S2_S2_EEv20rocsparse_operation_S3_16rocsparse_order_S4_T3_S5_S5_T2_NS_24const_host_device_scalarIT1_EEPKT4_lPKT5_lS9_PT6_PKS5_21rocsparse_index_base_b
	.p2align	8
	.type	_ZN9rocsparseL16sddmm_ell_kernelILi512ELi4E21rocsparse_complex_numIfEiiS2_S2_S2_EEv20rocsparse_operation_S3_16rocsparse_order_S4_T3_S5_S5_T2_NS_24const_host_device_scalarIT1_EEPKT4_lPKT5_lS9_PT6_PKS5_21rocsparse_index_base_b,@function
_ZN9rocsparseL16sddmm_ell_kernelILi512ELi4E21rocsparse_complex_numIfEiiS2_S2_S2_EEv20rocsparse_operation_S3_16rocsparse_order_S4_T3_S5_S5_T2_NS_24const_host_device_scalarIT1_EEPKT4_lPKT5_lS9_PT6_PKS5_21rocsparse_index_base_b: ; @_ZN9rocsparseL16sddmm_ell_kernelILi512ELi4E21rocsparse_complex_numIfEiiS2_S2_S2_EEv20rocsparse_operation_S3_16rocsparse_order_S4_T3_S5_S5_T2_NS_24const_host_device_scalarIT1_EEPKT4_lPKT5_lS9_PT6_PKS5_21rocsparse_index_base_b
; %bb.0:
	s_clause 0x2
	s_load_b64 s[8:9], s[0:1], 0x60
	s_load_b64 s[2:3], s[0:1], 0x20
	s_load_b128 s[4:7], s[0:1], 0x40
	v_mov_b32_e32 v1, 0
	s_add_nc_u64 s[10:11], s[0:1], 32
	s_wait_kmcnt 0x0
	s_bitcmp1_b32 s9, 0
	s_cselect_b32 s3, s11, s3
	s_cselect_b32 s2, s10, s2
	flat_load_b64 v[2:3], v1, s[2:3]
	s_wait_xcnt 0x0
	s_add_nc_u64 s[2:3], s[0:1], 0x48
	s_delay_alu instid0(SALU_CYCLE_1)
	s_cselect_b32 s3, s3, s7
	s_cselect_b32 s2, s2, s6
	flat_load_b64 v[4:5], v1, s[2:3]
	s_wait_xcnt 0x0
	s_mov_b32 s2, -1
	s_mov_b32 s3, exec_lo
	s_wait_loadcnt_dscnt 0x101
	v_bitop3_b32 v1, v2, 0x7fffffff, v3 bitop3:0xc8
	s_delay_alu instid0(VALU_DEP_1)
	v_cmpx_eq_u32_e32 0, v1
	s_cbranch_execz .LBB21_2
; %bb.1:
	s_wait_loadcnt_dscnt 0x0
	v_cmp_neq_f32_e32 vcc_lo, 1.0, v4
	v_cmp_neq_f32_e64 s2, 0, v5
	s_or_b32 s2, vcc_lo, s2
	s_delay_alu instid0(SALU_CYCLE_1)
	s_or_not1_b32 s2, s2, exec_lo
.LBB21_2:
	s_or_b32 exec_lo, exec_lo, s3
	s_and_saveexec_b32 s3, s2
	s_cbranch_execz .LBB21_31
; %bb.3:
	s_load_b64 s[2:3], s[0:1], 0x18
	s_bfe_u32 s6, ttmp6, 0x4000c
	s_and_b32 s7, ttmp6, 15
	s_add_co_i32 s6, s6, 1
	s_getreg_b32 s9, hwreg(HW_REG_IB_STS2, 6, 4)
	s_mul_i32 s6, ttmp9, s6
	v_lshrrev_b32_e32 v14, 2, v0
	s_add_co_i32 s7, s7, s6
	s_cmp_eq_u32 s9, 0
	s_cselect_b32 s6, ttmp9, s7
	s_delay_alu instid0(VALU_DEP_1) | instid1(SALU_CYCLE_1)
	v_lshl_or_b32 v6, s6, 7, v14
	s_wait_kmcnt 0x0
	s_delay_alu instid0(VALU_DEP_1)
	v_cmp_gt_i32_e32 vcc_lo, s3, v6
	s_and_b32 exec_lo, exec_lo, vcc_lo
	s_cbranch_execz .LBB21_31
; %bb.4:
	s_load_b64 s[6:7], s[0:1], 0x58
	s_mov_b32 s13, -1
	s_wait_kmcnt 0x0
	global_load_b32 v1, v6, s[6:7] scale_offset
	s_wait_loadcnt 0x0
	v_subrev_nc_u32_e32 v8, s8, v1
	s_delay_alu instid0(VALU_DEP_1)
	v_cmp_lt_i32_e32 vcc_lo, -1, v8
	s_and_b32 exec_lo, exec_lo, vcc_lo
	s_cbranch_execz .LBB21_31
; %bb.5:
	s_clause 0x1
	s_load_b128 s[8:11], s[0:1], 0x0
	s_load_b32 s6, s[0:1], 0x10
                                        ; implicit-def: $vgpr10_vgpr11
	s_wait_kmcnt 0x0
	s_cmp_eq_u32 s10, 1
	s_cselect_b32 s3, -1, 0
	s_cmp_eq_u32 s8, 0x6f
	s_cselect_b32 s12, -1, 0
	s_cmp_lg_u32 s8, 0x6f
	s_cselect_b32 s8, -1, 0
	s_abs_i32 s14, s6
	s_delay_alu instid0(SALU_CYCLE_1) | instskip(SKIP_1) | instid1(SALU_CYCLE_2)
	s_cvt_f32_u32 s6, s14
	s_sub_co_i32 s7, 0, s14
	v_rcp_iflag_f32_e32 v1, s6
	v_nop
	s_delay_alu instid0(TRANS32_DEP_1) | instskip(SKIP_2) | instid1(VALU_DEP_1)
	v_readfirstlane_b32 s6, v1
	v_sub_nc_u32_e32 v1, 0, v6
	s_mul_f32 s6, s6, 0x4f7ffffe
	v_max_i32_e32 v1, v6, v1
	s_delay_alu instid0(SALU_CYCLE_2) | instskip(NEXT) | instid1(SALU_CYCLE_3)
	s_cvt_u32_f32 s6, s6
	s_mul_i32 s7, s7, s6
	s_delay_alu instid0(SALU_CYCLE_1) | instskip(NEXT) | instid1(SALU_CYCLE_1)
	s_mul_hi_u32 s7, s6, s7
	s_add_co_i32 s6, s6, s7
	s_cmp_lg_u32 s10, 1
	v_mul_hi_u32 v7, v1, s6
	s_load_b64 s[6:7], s[0:1], 0x30
	s_delay_alu instid0(VALU_DEP_1) | instskip(NEXT) | instid1(VALU_DEP_1)
	v_mul_lo_u32 v7, v7, s14
	v_sub_nc_u32_e32 v1, v1, v7
	s_delay_alu instid0(VALU_DEP_1) | instskip(SKIP_1) | instid1(VALU_DEP_2)
	v_subrev_nc_u32_e32 v7, s14, v1
	v_cmp_le_u32_e32 vcc_lo, s14, v1
	v_dual_cndmask_b32 v1, v1, v7, vcc_lo :: v_dual_ashrrev_i32 v7, 31, v6
	s_delay_alu instid0(VALU_DEP_1) | instskip(SKIP_1) | instid1(VALU_DEP_2)
	v_subrev_nc_u32_e32 v9, s14, v1
	v_cmp_le_u32_e32 vcc_lo, s14, v1
	v_cndmask_b32_e32 v1, v1, v9, vcc_lo
	s_delay_alu instid0(VALU_DEP_1) | instskip(NEXT) | instid1(VALU_DEP_1)
	v_xor_b32_e32 v1, v1, v7
	v_sub_nc_u32_e32 v12, v1, v7
	s_delay_alu instid0(VALU_DEP_1)
	v_ashrrev_i32_e32 v13, 31, v12
	s_cbranch_scc0 .LBB21_9
; %bb.6:
	s_delay_alu instid0(VALU_DEP_1)
	v_mov_b64_e32 v[10:11], v[12:13]
	s_and_not1_b32 vcc_lo, exec_lo, s12
	s_cbranch_vccnz .LBB21_8
; %bb.7:
	s_wait_kmcnt 0x0
	v_mul_u64_e32 v[10:11], s[6:7], v[12:13]
.LBB21_8:
	s_mov_b32 s13, 0
.LBB21_9:
	s_delay_alu instid0(SALU_CYCLE_1)
	s_and_not1_b32 vcc_lo, exec_lo, s13
	s_cbranch_vccnz .LBB21_13
; %bb.10:
	s_and_not1_b32 vcc_lo, exec_lo, s8
	s_cbranch_vccnz .LBB21_12
; %bb.11:
	s_wait_kmcnt 0x0
	v_mul_u64_e32 v[12:13], s[6:7], v[12:13]
.LBB21_12:
	s_delay_alu instid0(VALU_DEP_1)
	v_mov_b64_e32 v[10:11], v[12:13]
.LBB21_13:
	s_cmp_eq_u32 s11, 1
	v_mov_b32_e32 v9, 0
	s_cselect_b32 s10, -1, 0
	s_cmp_eq_u32 s9, 0x6f
	s_cselect_b32 s13, -1, 0
	s_cmp_lg_u32 s9, 0x6f
	s_cselect_b32 s8, -1, 0
	s_cmp_lg_u32 s11, 1
	s_cbranch_scc0 .LBB21_17
; %bb.14:
	v_mov_b64_e32 v[12:13], v[8:9]
	s_and_not1_b32 vcc_lo, exec_lo, s8
	s_cbranch_vccnz .LBB21_16
; %bb.15:
	v_mul_u64_e32 v[12:13], s[4:5], v[8:9]
.LBB21_16:
	s_cbranch_execz .LBB21_18
	s_branch .LBB21_21
.LBB21_17:
                                        ; implicit-def: $vgpr12_vgpr13
.LBB21_18:
	s_and_not1_b32 vcc_lo, exec_lo, s13
	s_cbranch_vccnz .LBB21_20
; %bb.19:
	v_mul_u64_e32 v[8:9], s[4:5], v[8:9]
.LBB21_20:
	s_delay_alu instid0(VALU_DEP_1)
	v_mov_b64_e32 v[12:13], v[8:9]
.LBB21_21:
	v_dual_mov_b32 v9, 0 :: v_dual_bitop2_b32 v15, 3, v0 bitop3:0x40
	s_mov_b32 s8, exec_lo
	s_delay_alu instid0(VALU_DEP_1) | instskip(NEXT) | instid1(VALU_DEP_2)
	v_mov_b32_e32 v8, v9
	v_cmpx_gt_i32_e64 s2, v15
	s_cbranch_execz .LBB21_25
; %bb.22:
	s_xor_b32 s3, s12, s3
	v_dual_mov_b32 v9, 0 :: v_dual_bitop2_b32 v8, 3, v0 bitop3:0x40
	s_and_b32 s3, s3, exec_lo
	s_wait_kmcnt 0x0
	s_cselect_b32 s7, 0, s7
	s_cselect_b32 s6, 1, s6
	s_xor_b32 s3, s13, s10
	v_mul_u64_e32 v[16:17], s[6:7], v[8:9]
	s_and_b32 s3, s3, exec_lo
	s_cselect_b32 s11, s5, 0
	s_cselect_b32 s10, s4, 1
	s_clause 0x1
	s_load_b64 s[4:5], s[0:1], 0x38
	s_load_b64 s[12:13], s[0:1], 0x28
	v_mul_u64_e32 v[0:1], s[10:11], v[8:9]
	v_lshlrev_b64_e32 v[12:13], 3, v[12:13]
	v_lshlrev_b64_e32 v[10:11], 3, v[10:11]
	s_mov_b32 s3, 0
	v_mov_b32_e32 v8, v9
	s_delay_alu instid0(VALU_DEP_3) | instskip(SKIP_1) | instid1(VALU_DEP_1)
	v_lshl_add_u64 v[0:1], v[0:1], 3, v[12:13]
	s_wait_kmcnt 0x0
	v_add_nc_u64_e32 v[12:13], s[4:5], v[0:1]
	s_delay_alu instid0(VALU_DEP_4) | instskip(SKIP_2) | instid1(VALU_DEP_1)
	v_lshl_add_u64 v[0:1], v[16:17], 3, v[10:11]
	s_lshl_b64 s[4:5], s[6:7], 5
	s_lshl_b64 s[6:7], s[10:11], 5
	v_add_nc_u64_e32 v[0:1], s[12:13], v[0:1]
	s_delay_alu instid0(VALU_DEP_3)
	v_add_nc_u64_e32 v[10:11], 4, v[12:13]
	v_mov_b32_e32 v12, v15
.LBB21_23:                              ; =>This Inner Loop Header: Depth=1
	global_load_b64 v[16:17], v[0:1], off
	global_load_b64 v[18:19], v[10:11], off offset:-4
	v_add_nc_u32_e32 v12, 4, v12
	s_wait_xcnt 0x1
	v_add_nc_u64_e32 v[0:1], s[4:5], v[0:1]
	s_wait_xcnt 0x0
	v_add_nc_u64_e32 v[10:11], s[6:7], v[10:11]
	v_cmp_le_i32_e32 vcc_lo, s2, v12
	s_or_b32 s3, vcc_lo, s3
	s_wait_loadcnt 0x0
	v_pk_mul_f32 v[20:21], v[18:19], v[16:17] op_sel:[1,1] op_sel_hi:[1,0] neg_lo:[0,1]
	s_delay_alu instid0(VALU_DEP_1) | instskip(NEXT) | instid1(VALU_DEP_1)
	v_pk_fma_f32 v[16:17], v[16:17], v[18:19], v[20:21] op_sel_hi:[1,0,1]
	v_pk_add_f32 v[8:9], v[8:9], v[16:17]
	s_and_not1_b32 exec_lo, exec_lo, s3
	s_cbranch_execnz .LBB21_23
; %bb.24:
	s_or_b32 exec_lo, exec_lo, s3
.LBB21_25:
	s_delay_alu instid0(SALU_CYCLE_1) | instskip(SKIP_4) | instid1(VALU_DEP_1)
	s_or_b32 exec_lo, exec_lo, s8
	s_wait_xcnt 0x0
	s_load_b64 s[0:1], s[0:1], 0x50
	v_lshlrev_b32_e32 v0, 5, v14
	s_mov_b32 s2, exec_lo
	v_lshl_or_b32 v1, v15, 3, v0
	ds_store_b64 v1, v[8:9]
	s_wait_dscnt 0x0
	s_barrier_signal -1
	s_barrier_wait -1
	v_cmpx_gt_u32_e32 2, v15
	s_cbranch_execz .LBB21_27
; %bb.26:
	ds_load_2addr_b64 v[8:11], v1 offset1:2
	s_wait_dscnt 0x0
	v_pk_add_f32 v[8:9], v[10:11], v[8:9]
	ds_store_b64 v1, v[8:9]
.LBB21_27:
	s_or_b32 exec_lo, exec_lo, s2
	v_cmp_eq_u32_e32 vcc_lo, 0, v15
	s_wait_dscnt 0x0
	s_barrier_signal -1
	s_barrier_wait -1
	s_and_saveexec_b32 s2, vcc_lo
	s_cbranch_execz .LBB21_29
; %bb.28:
	ds_load_2addr_b64 v[8:11], v1 offset1:1
	s_wait_dscnt 0x0
	v_pk_add_f32 v[8:9], v[10:11], v[8:9]
	ds_store_b64 v1, v[8:9]
.LBB21_29:
	s_or_b32 exec_lo, exec_lo, s2
	s_wait_dscnt 0x0
	s_barrier_signal -1
	s_barrier_wait -1
	s_and_b32 exec_lo, exec_lo, vcc_lo
	s_cbranch_execz .LBB21_31
; %bb.30:
	s_wait_kmcnt 0x0
	v_lshl_add_u64 v[6:7], v[6:7], 3, s[0:1]
	ds_load_b64 v[0:1], v0
	v_mov_b32_e32 v10, v5
	global_load_b64 v[8:9], v[6:7], off
	s_wait_dscnt 0x0
	v_pk_mul_f32 v[12:13], v[0:1], v[2:3] op_sel:[1,1] op_sel_hi:[1,0] neg_lo:[0,1]
	s_delay_alu instid0(VALU_DEP_1) | instskip(SKIP_2) | instid1(VALU_DEP_1)
	v_pk_fma_f32 v[0:1], v[2:3], v[0:1], v[12:13] op_sel_hi:[1,0,1]
	s_wait_loadcnt 0x0
	v_pk_mul_f32 v[10:11], v[10:11], v[8:9] op_sel:[0,1] op_sel_hi:[0,0] neg_lo:[0,1]
	v_pk_fma_f32 v[4:5], v[8:9], v[4:5], v[10:11] op_sel_hi:[1,0,1]
	s_delay_alu instid0(VALU_DEP_1)
	v_pk_add_f32 v[0:1], v[0:1], v[4:5]
	global_store_b64 v[6:7], v[0:1], off
.LBB21_31:
	s_endpgm
	.section	.rodata,"a",@progbits
	.p2align	6, 0x0
	.amdhsa_kernel _ZN9rocsparseL16sddmm_ell_kernelILi512ELi4E21rocsparse_complex_numIfEiiS2_S2_S2_EEv20rocsparse_operation_S3_16rocsparse_order_S4_T3_S5_S5_T2_NS_24const_host_device_scalarIT1_EEPKT4_lPKT5_lS9_PT6_PKS5_21rocsparse_index_base_b
		.amdhsa_group_segment_fixed_size 4096
		.amdhsa_private_segment_fixed_size 0
		.amdhsa_kernarg_size 104
		.amdhsa_user_sgpr_count 2
		.amdhsa_user_sgpr_dispatch_ptr 0
		.amdhsa_user_sgpr_queue_ptr 0
		.amdhsa_user_sgpr_kernarg_segment_ptr 1
		.amdhsa_user_sgpr_dispatch_id 0
		.amdhsa_user_sgpr_kernarg_preload_length 0
		.amdhsa_user_sgpr_kernarg_preload_offset 0
		.amdhsa_user_sgpr_private_segment_size 0
		.amdhsa_wavefront_size32 1
		.amdhsa_uses_dynamic_stack 0
		.amdhsa_enable_private_segment 0
		.amdhsa_system_sgpr_workgroup_id_x 1
		.amdhsa_system_sgpr_workgroup_id_y 0
		.amdhsa_system_sgpr_workgroup_id_z 0
		.amdhsa_system_sgpr_workgroup_info 0
		.amdhsa_system_vgpr_workitem_id 0
		.amdhsa_next_free_vgpr 22
		.amdhsa_next_free_sgpr 15
		.amdhsa_named_barrier_count 0
		.amdhsa_reserve_vcc 1
		.amdhsa_float_round_mode_32 0
		.amdhsa_float_round_mode_16_64 0
		.amdhsa_float_denorm_mode_32 3
		.amdhsa_float_denorm_mode_16_64 3
		.amdhsa_fp16_overflow 0
		.amdhsa_memory_ordered 1
		.amdhsa_forward_progress 1
		.amdhsa_inst_pref_size 10
		.amdhsa_round_robin_scheduling 0
		.amdhsa_exception_fp_ieee_invalid_op 0
		.amdhsa_exception_fp_denorm_src 0
		.amdhsa_exception_fp_ieee_div_zero 0
		.amdhsa_exception_fp_ieee_overflow 0
		.amdhsa_exception_fp_ieee_underflow 0
		.amdhsa_exception_fp_ieee_inexact 0
		.amdhsa_exception_int_div_zero 0
	.end_amdhsa_kernel
	.section	.text._ZN9rocsparseL16sddmm_ell_kernelILi512ELi4E21rocsparse_complex_numIfEiiS2_S2_S2_EEv20rocsparse_operation_S3_16rocsparse_order_S4_T3_S5_S5_T2_NS_24const_host_device_scalarIT1_EEPKT4_lPKT5_lS9_PT6_PKS5_21rocsparse_index_base_b,"axG",@progbits,_ZN9rocsparseL16sddmm_ell_kernelILi512ELi4E21rocsparse_complex_numIfEiiS2_S2_S2_EEv20rocsparse_operation_S3_16rocsparse_order_S4_T3_S5_S5_T2_NS_24const_host_device_scalarIT1_EEPKT4_lPKT5_lS9_PT6_PKS5_21rocsparse_index_base_b,comdat
.Lfunc_end21:
	.size	_ZN9rocsparseL16sddmm_ell_kernelILi512ELi4E21rocsparse_complex_numIfEiiS2_S2_S2_EEv20rocsparse_operation_S3_16rocsparse_order_S4_T3_S5_S5_T2_NS_24const_host_device_scalarIT1_EEPKT4_lPKT5_lS9_PT6_PKS5_21rocsparse_index_base_b, .Lfunc_end21-_ZN9rocsparseL16sddmm_ell_kernelILi512ELi4E21rocsparse_complex_numIfEiiS2_S2_S2_EEv20rocsparse_operation_S3_16rocsparse_order_S4_T3_S5_S5_T2_NS_24const_host_device_scalarIT1_EEPKT4_lPKT5_lS9_PT6_PKS5_21rocsparse_index_base_b
                                        ; -- End function
	.set _ZN9rocsparseL16sddmm_ell_kernelILi512ELi4E21rocsparse_complex_numIfEiiS2_S2_S2_EEv20rocsparse_operation_S3_16rocsparse_order_S4_T3_S5_S5_T2_NS_24const_host_device_scalarIT1_EEPKT4_lPKT5_lS9_PT6_PKS5_21rocsparse_index_base_b.num_vgpr, 22
	.set _ZN9rocsparseL16sddmm_ell_kernelILi512ELi4E21rocsparse_complex_numIfEiiS2_S2_S2_EEv20rocsparse_operation_S3_16rocsparse_order_S4_T3_S5_S5_T2_NS_24const_host_device_scalarIT1_EEPKT4_lPKT5_lS9_PT6_PKS5_21rocsparse_index_base_b.num_agpr, 0
	.set _ZN9rocsparseL16sddmm_ell_kernelILi512ELi4E21rocsparse_complex_numIfEiiS2_S2_S2_EEv20rocsparse_operation_S3_16rocsparse_order_S4_T3_S5_S5_T2_NS_24const_host_device_scalarIT1_EEPKT4_lPKT5_lS9_PT6_PKS5_21rocsparse_index_base_b.numbered_sgpr, 15
	.set _ZN9rocsparseL16sddmm_ell_kernelILi512ELi4E21rocsparse_complex_numIfEiiS2_S2_S2_EEv20rocsparse_operation_S3_16rocsparse_order_S4_T3_S5_S5_T2_NS_24const_host_device_scalarIT1_EEPKT4_lPKT5_lS9_PT6_PKS5_21rocsparse_index_base_b.num_named_barrier, 0
	.set _ZN9rocsparseL16sddmm_ell_kernelILi512ELi4E21rocsparse_complex_numIfEiiS2_S2_S2_EEv20rocsparse_operation_S3_16rocsparse_order_S4_T3_S5_S5_T2_NS_24const_host_device_scalarIT1_EEPKT4_lPKT5_lS9_PT6_PKS5_21rocsparse_index_base_b.private_seg_size, 0
	.set _ZN9rocsparseL16sddmm_ell_kernelILi512ELi4E21rocsparse_complex_numIfEiiS2_S2_S2_EEv20rocsparse_operation_S3_16rocsparse_order_S4_T3_S5_S5_T2_NS_24const_host_device_scalarIT1_EEPKT4_lPKT5_lS9_PT6_PKS5_21rocsparse_index_base_b.uses_vcc, 1
	.set _ZN9rocsparseL16sddmm_ell_kernelILi512ELi4E21rocsparse_complex_numIfEiiS2_S2_S2_EEv20rocsparse_operation_S3_16rocsparse_order_S4_T3_S5_S5_T2_NS_24const_host_device_scalarIT1_EEPKT4_lPKT5_lS9_PT6_PKS5_21rocsparse_index_base_b.uses_flat_scratch, 0
	.set _ZN9rocsparseL16sddmm_ell_kernelILi512ELi4E21rocsparse_complex_numIfEiiS2_S2_S2_EEv20rocsparse_operation_S3_16rocsparse_order_S4_T3_S5_S5_T2_NS_24const_host_device_scalarIT1_EEPKT4_lPKT5_lS9_PT6_PKS5_21rocsparse_index_base_b.has_dyn_sized_stack, 0
	.set _ZN9rocsparseL16sddmm_ell_kernelILi512ELi4E21rocsparse_complex_numIfEiiS2_S2_S2_EEv20rocsparse_operation_S3_16rocsparse_order_S4_T3_S5_S5_T2_NS_24const_host_device_scalarIT1_EEPKT4_lPKT5_lS9_PT6_PKS5_21rocsparse_index_base_b.has_recursion, 0
	.set _ZN9rocsparseL16sddmm_ell_kernelILi512ELi4E21rocsparse_complex_numIfEiiS2_S2_S2_EEv20rocsparse_operation_S3_16rocsparse_order_S4_T3_S5_S5_T2_NS_24const_host_device_scalarIT1_EEPKT4_lPKT5_lS9_PT6_PKS5_21rocsparse_index_base_b.has_indirect_call, 0
	.section	.AMDGPU.csdata,"",@progbits
; Kernel info:
; codeLenInByte = 1252
; TotalNumSgprs: 17
; NumVgprs: 22
; ScratchSize: 0
; MemoryBound: 0
; FloatMode: 240
; IeeeMode: 1
; LDSByteSize: 4096 bytes/workgroup (compile time only)
; SGPRBlocks: 0
; VGPRBlocks: 1
; NumSGPRsForWavesPerEU: 17
; NumVGPRsForWavesPerEU: 22
; NamedBarCnt: 0
; Occupancy: 16
; WaveLimiterHint : 0
; COMPUTE_PGM_RSRC2:SCRATCH_EN: 0
; COMPUTE_PGM_RSRC2:USER_SGPR: 2
; COMPUTE_PGM_RSRC2:TRAP_HANDLER: 0
; COMPUTE_PGM_RSRC2:TGID_X_EN: 1
; COMPUTE_PGM_RSRC2:TGID_Y_EN: 0
; COMPUTE_PGM_RSRC2:TGID_Z_EN: 0
; COMPUTE_PGM_RSRC2:TIDIG_COMP_CNT: 0
	.section	.text._ZN9rocsparseL16sddmm_ell_kernelILi512ELi2E21rocsparse_complex_numIfEiiS2_S2_S2_EEv20rocsparse_operation_S3_16rocsparse_order_S4_T3_S5_S5_T2_NS_24const_host_device_scalarIT1_EEPKT4_lPKT5_lS9_PT6_PKS5_21rocsparse_index_base_b,"axG",@progbits,_ZN9rocsparseL16sddmm_ell_kernelILi512ELi2E21rocsparse_complex_numIfEiiS2_S2_S2_EEv20rocsparse_operation_S3_16rocsparse_order_S4_T3_S5_S5_T2_NS_24const_host_device_scalarIT1_EEPKT4_lPKT5_lS9_PT6_PKS5_21rocsparse_index_base_b,comdat
	.globl	_ZN9rocsparseL16sddmm_ell_kernelILi512ELi2E21rocsparse_complex_numIfEiiS2_S2_S2_EEv20rocsparse_operation_S3_16rocsparse_order_S4_T3_S5_S5_T2_NS_24const_host_device_scalarIT1_EEPKT4_lPKT5_lS9_PT6_PKS5_21rocsparse_index_base_b ; -- Begin function _ZN9rocsparseL16sddmm_ell_kernelILi512ELi2E21rocsparse_complex_numIfEiiS2_S2_S2_EEv20rocsparse_operation_S3_16rocsparse_order_S4_T3_S5_S5_T2_NS_24const_host_device_scalarIT1_EEPKT4_lPKT5_lS9_PT6_PKS5_21rocsparse_index_base_b
	.p2align	8
	.type	_ZN9rocsparseL16sddmm_ell_kernelILi512ELi2E21rocsparse_complex_numIfEiiS2_S2_S2_EEv20rocsparse_operation_S3_16rocsparse_order_S4_T3_S5_S5_T2_NS_24const_host_device_scalarIT1_EEPKT4_lPKT5_lS9_PT6_PKS5_21rocsparse_index_base_b,@function
_ZN9rocsparseL16sddmm_ell_kernelILi512ELi2E21rocsparse_complex_numIfEiiS2_S2_S2_EEv20rocsparse_operation_S3_16rocsparse_order_S4_T3_S5_S5_T2_NS_24const_host_device_scalarIT1_EEPKT4_lPKT5_lS9_PT6_PKS5_21rocsparse_index_base_b: ; @_ZN9rocsparseL16sddmm_ell_kernelILi512ELi2E21rocsparse_complex_numIfEiiS2_S2_S2_EEv20rocsparse_operation_S3_16rocsparse_order_S4_T3_S5_S5_T2_NS_24const_host_device_scalarIT1_EEPKT4_lPKT5_lS9_PT6_PKS5_21rocsparse_index_base_b
; %bb.0:
	s_clause 0x2
	s_load_b64 s[8:9], s[0:1], 0x60
	s_load_b64 s[2:3], s[0:1], 0x20
	s_load_b128 s[4:7], s[0:1], 0x40
	v_mov_b32_e32 v1, 0
	s_add_nc_u64 s[10:11], s[0:1], 32
	s_wait_kmcnt 0x0
	s_bitcmp1_b32 s9, 0
	s_cselect_b32 s3, s11, s3
	s_cselect_b32 s2, s10, s2
	flat_load_b64 v[2:3], v1, s[2:3]
	s_wait_xcnt 0x0
	s_add_nc_u64 s[2:3], s[0:1], 0x48
	s_delay_alu instid0(SALU_CYCLE_1)
	s_cselect_b32 s3, s3, s7
	s_cselect_b32 s2, s2, s6
	flat_load_b64 v[4:5], v1, s[2:3]
	s_wait_xcnt 0x0
	s_mov_b32 s2, -1
	s_mov_b32 s3, exec_lo
	s_wait_loadcnt_dscnt 0x101
	v_bitop3_b32 v1, v2, 0x7fffffff, v3 bitop3:0xc8
	s_delay_alu instid0(VALU_DEP_1)
	v_cmpx_eq_u32_e32 0, v1
	s_cbranch_execz .LBB22_2
; %bb.1:
	s_wait_loadcnt_dscnt 0x0
	v_cmp_neq_f32_e32 vcc_lo, 1.0, v4
	v_cmp_neq_f32_e64 s2, 0, v5
	s_or_b32 s2, vcc_lo, s2
	s_delay_alu instid0(SALU_CYCLE_1)
	s_or_not1_b32 s2, s2, exec_lo
.LBB22_2:
	s_or_b32 exec_lo, exec_lo, s3
	s_and_saveexec_b32 s3, s2
	s_cbranch_execz .LBB22_29
; %bb.3:
	s_load_b64 s[2:3], s[0:1], 0x18
	s_bfe_u32 s6, ttmp6, 0x4000c
	s_and_b32 s7, ttmp6, 15
	s_add_co_i32 s6, s6, 1
	s_getreg_b32 s9, hwreg(HW_REG_IB_STS2, 6, 4)
	s_mul_i32 s6, ttmp9, s6
	v_lshrrev_b32_e32 v14, 1, v0
	s_add_co_i32 s7, s7, s6
	s_cmp_eq_u32 s9, 0
	s_cselect_b32 s6, ttmp9, s7
	s_delay_alu instid0(VALU_DEP_1) | instid1(SALU_CYCLE_1)
	v_lshl_or_b32 v6, s6, 8, v14
	s_wait_kmcnt 0x0
	s_delay_alu instid0(VALU_DEP_1)
	v_cmp_gt_i32_e32 vcc_lo, s3, v6
	s_and_b32 exec_lo, exec_lo, vcc_lo
	s_cbranch_execz .LBB22_29
; %bb.4:
	s_load_b64 s[6:7], s[0:1], 0x58
	s_mov_b32 s13, -1
	s_wait_kmcnt 0x0
	global_load_b32 v1, v6, s[6:7] scale_offset
	s_wait_loadcnt 0x0
	v_subrev_nc_u32_e32 v8, s8, v1
	s_delay_alu instid0(VALU_DEP_1)
	v_cmp_lt_i32_e32 vcc_lo, -1, v8
	s_and_b32 exec_lo, exec_lo, vcc_lo
	s_cbranch_execz .LBB22_29
; %bb.5:
	s_clause 0x1
	s_load_b128 s[8:11], s[0:1], 0x0
	s_load_b32 s6, s[0:1], 0x10
                                        ; implicit-def: $vgpr10_vgpr11
	s_wait_kmcnt 0x0
	s_cmp_eq_u32 s10, 1
	s_cselect_b32 s3, -1, 0
	s_cmp_eq_u32 s8, 0x6f
	s_cselect_b32 s12, -1, 0
	s_cmp_lg_u32 s8, 0x6f
	s_cselect_b32 s8, -1, 0
	s_abs_i32 s14, s6
	s_delay_alu instid0(SALU_CYCLE_1) | instskip(SKIP_1) | instid1(SALU_CYCLE_2)
	s_cvt_f32_u32 s6, s14
	s_sub_co_i32 s7, 0, s14
	v_rcp_iflag_f32_e32 v1, s6
	v_nop
	s_delay_alu instid0(TRANS32_DEP_1) | instskip(SKIP_2) | instid1(VALU_DEP_1)
	v_readfirstlane_b32 s6, v1
	v_sub_nc_u32_e32 v1, 0, v6
	s_mul_f32 s6, s6, 0x4f7ffffe
	v_max_i32_e32 v1, v6, v1
	s_delay_alu instid0(SALU_CYCLE_2) | instskip(NEXT) | instid1(SALU_CYCLE_3)
	s_cvt_u32_f32 s6, s6
	s_mul_i32 s7, s7, s6
	s_delay_alu instid0(SALU_CYCLE_1) | instskip(NEXT) | instid1(SALU_CYCLE_1)
	s_mul_hi_u32 s7, s6, s7
	s_add_co_i32 s6, s6, s7
	s_cmp_lg_u32 s10, 1
	v_mul_hi_u32 v7, v1, s6
	s_load_b64 s[6:7], s[0:1], 0x30
	s_delay_alu instid0(VALU_DEP_1) | instskip(NEXT) | instid1(VALU_DEP_1)
	v_mul_lo_u32 v7, v7, s14
	v_sub_nc_u32_e32 v1, v1, v7
	s_delay_alu instid0(VALU_DEP_1) | instskip(SKIP_1) | instid1(VALU_DEP_2)
	v_subrev_nc_u32_e32 v7, s14, v1
	v_cmp_le_u32_e32 vcc_lo, s14, v1
	v_dual_cndmask_b32 v1, v1, v7, vcc_lo :: v_dual_ashrrev_i32 v7, 31, v6
	s_delay_alu instid0(VALU_DEP_1) | instskip(SKIP_1) | instid1(VALU_DEP_2)
	v_subrev_nc_u32_e32 v9, s14, v1
	v_cmp_le_u32_e32 vcc_lo, s14, v1
	v_cndmask_b32_e32 v1, v1, v9, vcc_lo
	s_delay_alu instid0(VALU_DEP_1) | instskip(NEXT) | instid1(VALU_DEP_1)
	v_xor_b32_e32 v1, v1, v7
	v_sub_nc_u32_e32 v12, v1, v7
	s_delay_alu instid0(VALU_DEP_1)
	v_ashrrev_i32_e32 v13, 31, v12
	s_cbranch_scc0 .LBB22_9
; %bb.6:
	s_delay_alu instid0(VALU_DEP_1)
	v_mov_b64_e32 v[10:11], v[12:13]
	s_and_not1_b32 vcc_lo, exec_lo, s12
	s_cbranch_vccnz .LBB22_8
; %bb.7:
	s_wait_kmcnt 0x0
	v_mul_u64_e32 v[10:11], s[6:7], v[12:13]
.LBB22_8:
	s_mov_b32 s13, 0
.LBB22_9:
	s_delay_alu instid0(SALU_CYCLE_1)
	s_and_not1_b32 vcc_lo, exec_lo, s13
	s_cbranch_vccnz .LBB22_13
; %bb.10:
	s_and_not1_b32 vcc_lo, exec_lo, s8
	s_cbranch_vccnz .LBB22_12
; %bb.11:
	s_wait_kmcnt 0x0
	v_mul_u64_e32 v[12:13], s[6:7], v[12:13]
.LBB22_12:
	s_delay_alu instid0(VALU_DEP_1)
	v_mov_b64_e32 v[10:11], v[12:13]
.LBB22_13:
	s_cmp_eq_u32 s11, 1
	v_mov_b32_e32 v9, 0
	s_cselect_b32 s10, -1, 0
	s_cmp_eq_u32 s9, 0x6f
	s_cselect_b32 s13, -1, 0
	s_cmp_lg_u32 s9, 0x6f
	s_cselect_b32 s8, -1, 0
	s_cmp_lg_u32 s11, 1
	s_cbranch_scc0 .LBB22_17
; %bb.14:
	v_mov_b64_e32 v[12:13], v[8:9]
	s_and_not1_b32 vcc_lo, exec_lo, s8
	s_cbranch_vccnz .LBB22_16
; %bb.15:
	v_mul_u64_e32 v[12:13], s[4:5], v[8:9]
.LBB22_16:
	s_cbranch_execz .LBB22_18
	s_branch .LBB22_21
.LBB22_17:
                                        ; implicit-def: $vgpr12_vgpr13
.LBB22_18:
	s_and_not1_b32 vcc_lo, exec_lo, s13
	s_cbranch_vccnz .LBB22_20
; %bb.19:
	v_mul_u64_e32 v[8:9], s[4:5], v[8:9]
.LBB22_20:
	s_delay_alu instid0(VALU_DEP_1)
	v_mov_b64_e32 v[12:13], v[8:9]
.LBB22_21:
	v_dual_mov_b32 v9, 0 :: v_dual_bitop2_b32 v15, 1, v0 bitop3:0x40
	s_mov_b32 s8, exec_lo
	s_delay_alu instid0(VALU_DEP_1) | instskip(NEXT) | instid1(VALU_DEP_2)
	v_mov_b32_e32 v8, v9
	v_cmpx_gt_i32_e64 s2, v15
	s_cbranch_execz .LBB22_25
; %bb.22:
	s_xor_b32 s3, s12, s3
	v_dual_mov_b32 v9, 0 :: v_dual_bitop2_b32 v8, 1, v0 bitop3:0x40
	s_and_b32 s3, s3, exec_lo
	s_wait_kmcnt 0x0
	s_cselect_b32 s7, 0, s7
	s_cselect_b32 s6, 1, s6
	s_xor_b32 s3, s13, s10
	v_mul_u64_e32 v[16:17], s[6:7], v[8:9]
	s_and_b32 s3, s3, exec_lo
	s_cselect_b32 s11, s5, 0
	s_cselect_b32 s10, s4, 1
	s_clause 0x1
	s_load_b64 s[4:5], s[0:1], 0x38
	s_load_b64 s[12:13], s[0:1], 0x28
	v_mul_u64_e32 v[0:1], s[10:11], v[8:9]
	v_lshlrev_b64_e32 v[12:13], 3, v[12:13]
	v_lshlrev_b64_e32 v[10:11], 3, v[10:11]
	s_mov_b32 s3, 0
	v_mov_b32_e32 v8, v9
	s_delay_alu instid0(VALU_DEP_3) | instskip(SKIP_1) | instid1(VALU_DEP_1)
	v_lshl_add_u64 v[0:1], v[0:1], 3, v[12:13]
	s_wait_kmcnt 0x0
	v_add_nc_u64_e32 v[12:13], s[4:5], v[0:1]
	s_delay_alu instid0(VALU_DEP_4) | instskip(SKIP_2) | instid1(VALU_DEP_1)
	v_lshl_add_u64 v[0:1], v[16:17], 3, v[10:11]
	s_lshl_b64 s[4:5], s[6:7], 4
	s_lshl_b64 s[6:7], s[10:11], 4
	v_add_nc_u64_e32 v[0:1], s[12:13], v[0:1]
	s_delay_alu instid0(VALU_DEP_3)
	v_add_nc_u64_e32 v[10:11], 4, v[12:13]
	v_mov_b32_e32 v12, v15
.LBB22_23:                              ; =>This Inner Loop Header: Depth=1
	global_load_b64 v[16:17], v[0:1], off
	global_load_b64 v[18:19], v[10:11], off offset:-4
	v_add_nc_u32_e32 v12, 2, v12
	s_wait_xcnt 0x1
	v_add_nc_u64_e32 v[0:1], s[4:5], v[0:1]
	s_wait_xcnt 0x0
	v_add_nc_u64_e32 v[10:11], s[6:7], v[10:11]
	v_cmp_le_i32_e32 vcc_lo, s2, v12
	s_or_b32 s3, vcc_lo, s3
	s_wait_loadcnt 0x0
	v_pk_mul_f32 v[20:21], v[18:19], v[16:17] op_sel:[1,1] op_sel_hi:[1,0] neg_lo:[0,1]
	s_delay_alu instid0(VALU_DEP_1) | instskip(NEXT) | instid1(VALU_DEP_1)
	v_pk_fma_f32 v[16:17], v[16:17], v[18:19], v[20:21] op_sel_hi:[1,0,1]
	v_pk_add_f32 v[8:9], v[8:9], v[16:17]
	s_and_not1_b32 exec_lo, exec_lo, s3
	s_cbranch_execnz .LBB22_23
; %bb.24:
	s_or_b32 exec_lo, exec_lo, s3
.LBB22_25:
	s_delay_alu instid0(SALU_CYCLE_1) | instskip(SKIP_4) | instid1(VALU_DEP_2)
	s_or_b32 exec_lo, exec_lo, s8
	s_wait_xcnt 0x0
	s_load_b64 s[0:1], s[0:1], 0x50
	v_lshlrev_b32_e32 v0, 4, v14
	v_cmp_eq_u32_e32 vcc_lo, 0, v15
	v_lshl_or_b32 v1, v15, 3, v0
	ds_store_b64 v1, v[8:9]
	s_wait_dscnt 0x0
	s_barrier_signal -1
	s_barrier_wait -1
	s_and_saveexec_b32 s2, vcc_lo
	s_cbranch_execz .LBB22_27
; %bb.26:
	ds_load_b64 v[8:9], v0 offset:8
	ds_load_b64 v[10:11], v1
	s_wait_dscnt 0x0
	v_pk_add_f32 v[8:9], v[8:9], v[10:11]
	ds_store_b64 v1, v[8:9]
.LBB22_27:
	s_or_b32 exec_lo, exec_lo, s2
	s_wait_dscnt 0x0
	s_barrier_signal -1
	s_barrier_wait -1
	s_and_b32 exec_lo, exec_lo, vcc_lo
	s_cbranch_execz .LBB22_29
; %bb.28:
	s_wait_kmcnt 0x0
	v_lshl_add_u64 v[6:7], v[6:7], 3, s[0:1]
	ds_load_b64 v[0:1], v0
	v_mov_b32_e32 v10, v5
	global_load_b64 v[8:9], v[6:7], off
	s_wait_dscnt 0x0
	v_pk_mul_f32 v[12:13], v[0:1], v[2:3] op_sel:[1,1] op_sel_hi:[1,0] neg_lo:[0,1]
	s_delay_alu instid0(VALU_DEP_1) | instskip(SKIP_2) | instid1(VALU_DEP_1)
	v_pk_fma_f32 v[0:1], v[2:3], v[0:1], v[12:13] op_sel_hi:[1,0,1]
	s_wait_loadcnt 0x0
	v_pk_mul_f32 v[10:11], v[10:11], v[8:9] op_sel:[0,1] op_sel_hi:[0,0] neg_lo:[0,1]
	v_pk_fma_f32 v[4:5], v[8:9], v[4:5], v[10:11] op_sel_hi:[1,0,1]
	s_delay_alu instid0(VALU_DEP_1)
	v_pk_add_f32 v[0:1], v[0:1], v[4:5]
	global_store_b64 v[6:7], v[0:1], off
.LBB22_29:
	s_endpgm
	.section	.rodata,"a",@progbits
	.p2align	6, 0x0
	.amdhsa_kernel _ZN9rocsparseL16sddmm_ell_kernelILi512ELi2E21rocsparse_complex_numIfEiiS2_S2_S2_EEv20rocsparse_operation_S3_16rocsparse_order_S4_T3_S5_S5_T2_NS_24const_host_device_scalarIT1_EEPKT4_lPKT5_lS9_PT6_PKS5_21rocsparse_index_base_b
		.amdhsa_group_segment_fixed_size 4096
		.amdhsa_private_segment_fixed_size 0
		.amdhsa_kernarg_size 104
		.amdhsa_user_sgpr_count 2
		.amdhsa_user_sgpr_dispatch_ptr 0
		.amdhsa_user_sgpr_queue_ptr 0
		.amdhsa_user_sgpr_kernarg_segment_ptr 1
		.amdhsa_user_sgpr_dispatch_id 0
		.amdhsa_user_sgpr_kernarg_preload_length 0
		.amdhsa_user_sgpr_kernarg_preload_offset 0
		.amdhsa_user_sgpr_private_segment_size 0
		.amdhsa_wavefront_size32 1
		.amdhsa_uses_dynamic_stack 0
		.amdhsa_enable_private_segment 0
		.amdhsa_system_sgpr_workgroup_id_x 1
		.amdhsa_system_sgpr_workgroup_id_y 0
		.amdhsa_system_sgpr_workgroup_id_z 0
		.amdhsa_system_sgpr_workgroup_info 0
		.amdhsa_system_vgpr_workitem_id 0
		.amdhsa_next_free_vgpr 22
		.amdhsa_next_free_sgpr 15
		.amdhsa_named_barrier_count 0
		.amdhsa_reserve_vcc 1
		.amdhsa_float_round_mode_32 0
		.amdhsa_float_round_mode_16_64 0
		.amdhsa_float_denorm_mode_32 3
		.amdhsa_float_denorm_mode_16_64 3
		.amdhsa_fp16_overflow 0
		.amdhsa_memory_ordered 1
		.amdhsa_forward_progress 1
		.amdhsa_inst_pref_size 10
		.amdhsa_round_robin_scheduling 0
		.amdhsa_exception_fp_ieee_invalid_op 0
		.amdhsa_exception_fp_denorm_src 0
		.amdhsa_exception_fp_ieee_div_zero 0
		.amdhsa_exception_fp_ieee_overflow 0
		.amdhsa_exception_fp_ieee_underflow 0
		.amdhsa_exception_fp_ieee_inexact 0
		.amdhsa_exception_int_div_zero 0
	.end_amdhsa_kernel
	.section	.text._ZN9rocsparseL16sddmm_ell_kernelILi512ELi2E21rocsparse_complex_numIfEiiS2_S2_S2_EEv20rocsparse_operation_S3_16rocsparse_order_S4_T3_S5_S5_T2_NS_24const_host_device_scalarIT1_EEPKT4_lPKT5_lS9_PT6_PKS5_21rocsparse_index_base_b,"axG",@progbits,_ZN9rocsparseL16sddmm_ell_kernelILi512ELi2E21rocsparse_complex_numIfEiiS2_S2_S2_EEv20rocsparse_operation_S3_16rocsparse_order_S4_T3_S5_S5_T2_NS_24const_host_device_scalarIT1_EEPKT4_lPKT5_lS9_PT6_PKS5_21rocsparse_index_base_b,comdat
.Lfunc_end22:
	.size	_ZN9rocsparseL16sddmm_ell_kernelILi512ELi2E21rocsparse_complex_numIfEiiS2_S2_S2_EEv20rocsparse_operation_S3_16rocsparse_order_S4_T3_S5_S5_T2_NS_24const_host_device_scalarIT1_EEPKT4_lPKT5_lS9_PT6_PKS5_21rocsparse_index_base_b, .Lfunc_end22-_ZN9rocsparseL16sddmm_ell_kernelILi512ELi2E21rocsparse_complex_numIfEiiS2_S2_S2_EEv20rocsparse_operation_S3_16rocsparse_order_S4_T3_S5_S5_T2_NS_24const_host_device_scalarIT1_EEPKT4_lPKT5_lS9_PT6_PKS5_21rocsparse_index_base_b
                                        ; -- End function
	.set _ZN9rocsparseL16sddmm_ell_kernelILi512ELi2E21rocsparse_complex_numIfEiiS2_S2_S2_EEv20rocsparse_operation_S3_16rocsparse_order_S4_T3_S5_S5_T2_NS_24const_host_device_scalarIT1_EEPKT4_lPKT5_lS9_PT6_PKS5_21rocsparse_index_base_b.num_vgpr, 22
	.set _ZN9rocsparseL16sddmm_ell_kernelILi512ELi2E21rocsparse_complex_numIfEiiS2_S2_S2_EEv20rocsparse_operation_S3_16rocsparse_order_S4_T3_S5_S5_T2_NS_24const_host_device_scalarIT1_EEPKT4_lPKT5_lS9_PT6_PKS5_21rocsparse_index_base_b.num_agpr, 0
	.set _ZN9rocsparseL16sddmm_ell_kernelILi512ELi2E21rocsparse_complex_numIfEiiS2_S2_S2_EEv20rocsparse_operation_S3_16rocsparse_order_S4_T3_S5_S5_T2_NS_24const_host_device_scalarIT1_EEPKT4_lPKT5_lS9_PT6_PKS5_21rocsparse_index_base_b.numbered_sgpr, 15
	.set _ZN9rocsparseL16sddmm_ell_kernelILi512ELi2E21rocsparse_complex_numIfEiiS2_S2_S2_EEv20rocsparse_operation_S3_16rocsparse_order_S4_T3_S5_S5_T2_NS_24const_host_device_scalarIT1_EEPKT4_lPKT5_lS9_PT6_PKS5_21rocsparse_index_base_b.num_named_barrier, 0
	.set _ZN9rocsparseL16sddmm_ell_kernelILi512ELi2E21rocsparse_complex_numIfEiiS2_S2_S2_EEv20rocsparse_operation_S3_16rocsparse_order_S4_T3_S5_S5_T2_NS_24const_host_device_scalarIT1_EEPKT4_lPKT5_lS9_PT6_PKS5_21rocsparse_index_base_b.private_seg_size, 0
	.set _ZN9rocsparseL16sddmm_ell_kernelILi512ELi2E21rocsparse_complex_numIfEiiS2_S2_S2_EEv20rocsparse_operation_S3_16rocsparse_order_S4_T3_S5_S5_T2_NS_24const_host_device_scalarIT1_EEPKT4_lPKT5_lS9_PT6_PKS5_21rocsparse_index_base_b.uses_vcc, 1
	.set _ZN9rocsparseL16sddmm_ell_kernelILi512ELi2E21rocsparse_complex_numIfEiiS2_S2_S2_EEv20rocsparse_operation_S3_16rocsparse_order_S4_T3_S5_S5_T2_NS_24const_host_device_scalarIT1_EEPKT4_lPKT5_lS9_PT6_PKS5_21rocsparse_index_base_b.uses_flat_scratch, 0
	.set _ZN9rocsparseL16sddmm_ell_kernelILi512ELi2E21rocsparse_complex_numIfEiiS2_S2_S2_EEv20rocsparse_operation_S3_16rocsparse_order_S4_T3_S5_S5_T2_NS_24const_host_device_scalarIT1_EEPKT4_lPKT5_lS9_PT6_PKS5_21rocsparse_index_base_b.has_dyn_sized_stack, 0
	.set _ZN9rocsparseL16sddmm_ell_kernelILi512ELi2E21rocsparse_complex_numIfEiiS2_S2_S2_EEv20rocsparse_operation_S3_16rocsparse_order_S4_T3_S5_S5_T2_NS_24const_host_device_scalarIT1_EEPKT4_lPKT5_lS9_PT6_PKS5_21rocsparse_index_base_b.has_recursion, 0
	.set _ZN9rocsparseL16sddmm_ell_kernelILi512ELi2E21rocsparse_complex_numIfEiiS2_S2_S2_EEv20rocsparse_operation_S3_16rocsparse_order_S4_T3_S5_S5_T2_NS_24const_host_device_scalarIT1_EEPKT4_lPKT5_lS9_PT6_PKS5_21rocsparse_index_base_b.has_indirect_call, 0
	.section	.AMDGPU.csdata,"",@progbits
; Kernel info:
; codeLenInByte = 1204
; TotalNumSgprs: 17
; NumVgprs: 22
; ScratchSize: 0
; MemoryBound: 0
; FloatMode: 240
; IeeeMode: 1
; LDSByteSize: 4096 bytes/workgroup (compile time only)
; SGPRBlocks: 0
; VGPRBlocks: 1
; NumSGPRsForWavesPerEU: 17
; NumVGPRsForWavesPerEU: 22
; NamedBarCnt: 0
; Occupancy: 16
; WaveLimiterHint : 0
; COMPUTE_PGM_RSRC2:SCRATCH_EN: 0
; COMPUTE_PGM_RSRC2:USER_SGPR: 2
; COMPUTE_PGM_RSRC2:TRAP_HANDLER: 0
; COMPUTE_PGM_RSRC2:TGID_X_EN: 1
; COMPUTE_PGM_RSRC2:TGID_Y_EN: 0
; COMPUTE_PGM_RSRC2:TGID_Z_EN: 0
; COMPUTE_PGM_RSRC2:TIDIG_COMP_CNT: 0
	.section	.text._ZN9rocsparseL16sddmm_ell_kernelILi512ELi1E21rocsparse_complex_numIfEiiS2_S2_S2_EEv20rocsparse_operation_S3_16rocsparse_order_S4_T3_S5_S5_T2_NS_24const_host_device_scalarIT1_EEPKT4_lPKT5_lS9_PT6_PKS5_21rocsparse_index_base_b,"axG",@progbits,_ZN9rocsparseL16sddmm_ell_kernelILi512ELi1E21rocsparse_complex_numIfEiiS2_S2_S2_EEv20rocsparse_operation_S3_16rocsparse_order_S4_T3_S5_S5_T2_NS_24const_host_device_scalarIT1_EEPKT4_lPKT5_lS9_PT6_PKS5_21rocsparse_index_base_b,comdat
	.globl	_ZN9rocsparseL16sddmm_ell_kernelILi512ELi1E21rocsparse_complex_numIfEiiS2_S2_S2_EEv20rocsparse_operation_S3_16rocsparse_order_S4_T3_S5_S5_T2_NS_24const_host_device_scalarIT1_EEPKT4_lPKT5_lS9_PT6_PKS5_21rocsparse_index_base_b ; -- Begin function _ZN9rocsparseL16sddmm_ell_kernelILi512ELi1E21rocsparse_complex_numIfEiiS2_S2_S2_EEv20rocsparse_operation_S3_16rocsparse_order_S4_T3_S5_S5_T2_NS_24const_host_device_scalarIT1_EEPKT4_lPKT5_lS9_PT6_PKS5_21rocsparse_index_base_b
	.p2align	8
	.type	_ZN9rocsparseL16sddmm_ell_kernelILi512ELi1E21rocsparse_complex_numIfEiiS2_S2_S2_EEv20rocsparse_operation_S3_16rocsparse_order_S4_T3_S5_S5_T2_NS_24const_host_device_scalarIT1_EEPKT4_lPKT5_lS9_PT6_PKS5_21rocsparse_index_base_b,@function
_ZN9rocsparseL16sddmm_ell_kernelILi512ELi1E21rocsparse_complex_numIfEiiS2_S2_S2_EEv20rocsparse_operation_S3_16rocsparse_order_S4_T3_S5_S5_T2_NS_24const_host_device_scalarIT1_EEPKT4_lPKT5_lS9_PT6_PKS5_21rocsparse_index_base_b: ; @_ZN9rocsparseL16sddmm_ell_kernelILi512ELi1E21rocsparse_complex_numIfEiiS2_S2_S2_EEv20rocsparse_operation_S3_16rocsparse_order_S4_T3_S5_S5_T2_NS_24const_host_device_scalarIT1_EEPKT4_lPKT5_lS9_PT6_PKS5_21rocsparse_index_base_b
; %bb.0:
	s_clause 0x2
	s_load_b64 s[8:9], s[0:1], 0x60
	s_load_b64 s[2:3], s[0:1], 0x20
	s_load_b128 s[4:7], s[0:1], 0x40
	v_mov_b32_e32 v1, 0
	s_add_nc_u64 s[10:11], s[0:1], 32
	s_wait_kmcnt 0x0
	s_bitcmp1_b32 s9, 0
	s_cselect_b32 s3, s11, s3
	s_cselect_b32 s2, s10, s2
	flat_load_b64 v[2:3], v1, s[2:3]
	s_wait_xcnt 0x0
	s_add_nc_u64 s[2:3], s[0:1], 0x48
	s_delay_alu instid0(SALU_CYCLE_1)
	s_cselect_b32 s3, s3, s7
	s_cselect_b32 s2, s2, s6
	flat_load_b64 v[4:5], v1, s[2:3]
	s_wait_xcnt 0x0
	s_mov_b32 s2, -1
	s_mov_b32 s3, exec_lo
	s_wait_loadcnt_dscnt 0x101
	v_bitop3_b32 v1, v2, 0x7fffffff, v3 bitop3:0xc8
	s_delay_alu instid0(VALU_DEP_1)
	v_cmpx_eq_u32_e32 0, v1
	s_cbranch_execz .LBB23_2
; %bb.1:
	s_wait_loadcnt_dscnt 0x0
	v_cmp_neq_f32_e32 vcc_lo, 1.0, v4
	v_cmp_neq_f32_e64 s2, 0, v5
	s_or_b32 s2, vcc_lo, s2
	s_delay_alu instid0(SALU_CYCLE_1)
	s_or_not1_b32 s2, s2, exec_lo
.LBB23_2:
	s_or_b32 exec_lo, exec_lo, s3
	s_and_saveexec_b32 s3, s2
	s_cbranch_execz .LBB23_26
; %bb.3:
	s_load_b64 s[2:3], s[0:1], 0x18
	s_bfe_u32 s6, ttmp6, 0x4000c
	s_and_b32 s7, ttmp6, 15
	s_add_co_i32 s6, s6, 1
	s_getreg_b32 s9, hwreg(HW_REG_IB_STS2, 6, 4)
	s_mul_i32 s6, ttmp9, s6
	s_delay_alu instid0(SALU_CYCLE_1) | instskip(SKIP_2) | instid1(SALU_CYCLE_1)
	s_add_co_i32 s7, s7, s6
	s_cmp_eq_u32 s9, 0
	s_cselect_b32 s6, ttmp9, s7
	v_lshl_or_b32 v6, s6, 9, v0
	s_wait_kmcnt 0x0
	s_delay_alu instid0(VALU_DEP_1)
	v_cmp_gt_i32_e32 vcc_lo, s3, v6
	s_and_b32 exec_lo, exec_lo, vcc_lo
	s_cbranch_execz .LBB23_26
; %bb.4:
	s_load_b64 s[6:7], s[0:1], 0x58
	s_mov_b32 s13, -1
	s_wait_kmcnt 0x0
	global_load_b32 v1, v6, s[6:7] scale_offset
	s_wait_loadcnt 0x0
	v_subrev_nc_u32_e32 v8, s8, v1
	s_delay_alu instid0(VALU_DEP_1)
	v_cmp_lt_i32_e32 vcc_lo, -1, v8
	s_and_b32 exec_lo, exec_lo, vcc_lo
	s_cbranch_execz .LBB23_26
; %bb.5:
	s_clause 0x1
	s_load_b128 s[8:11], s[0:1], 0x0
	s_load_b32 s6, s[0:1], 0x10
                                        ; implicit-def: $vgpr10_vgpr11
	s_wait_kmcnt 0x0
	s_cmp_eq_u32 s10, 1
	s_cselect_b32 s3, -1, 0
	s_cmp_eq_u32 s8, 0x6f
	s_cselect_b32 s12, -1, 0
	s_cmp_lg_u32 s8, 0x6f
	s_cselect_b32 s8, -1, 0
	s_abs_i32 s14, s6
	s_delay_alu instid0(SALU_CYCLE_1) | instskip(SKIP_1) | instid1(SALU_CYCLE_2)
	s_cvt_f32_u32 s6, s14
	s_sub_co_i32 s7, 0, s14
	v_rcp_iflag_f32_e32 v1, s6
	v_nop
	s_delay_alu instid0(TRANS32_DEP_1) | instskip(SKIP_2) | instid1(VALU_DEP_1)
	v_readfirstlane_b32 s6, v1
	v_sub_nc_u32_e32 v1, 0, v6
	s_mul_f32 s6, s6, 0x4f7ffffe
	v_max_i32_e32 v1, v6, v1
	s_delay_alu instid0(SALU_CYCLE_2) | instskip(NEXT) | instid1(SALU_CYCLE_3)
	s_cvt_u32_f32 s6, s6
	s_mul_i32 s7, s7, s6
	s_delay_alu instid0(SALU_CYCLE_1) | instskip(NEXT) | instid1(SALU_CYCLE_1)
	s_mul_hi_u32 s7, s6, s7
	s_add_co_i32 s6, s6, s7
	s_cmp_lg_u32 s10, 1
	v_mul_hi_u32 v7, v1, s6
	s_load_b64 s[6:7], s[0:1], 0x30
	s_delay_alu instid0(VALU_DEP_1) | instskip(NEXT) | instid1(VALU_DEP_1)
	v_mul_lo_u32 v7, v7, s14
	v_sub_nc_u32_e32 v1, v1, v7
	s_delay_alu instid0(VALU_DEP_1) | instskip(SKIP_1) | instid1(VALU_DEP_2)
	v_subrev_nc_u32_e32 v7, s14, v1
	v_cmp_le_u32_e32 vcc_lo, s14, v1
	v_dual_cndmask_b32 v1, v1, v7, vcc_lo :: v_dual_ashrrev_i32 v7, 31, v6
	s_delay_alu instid0(VALU_DEP_1) | instskip(SKIP_1) | instid1(VALU_DEP_2)
	v_subrev_nc_u32_e32 v9, s14, v1
	v_cmp_le_u32_e32 vcc_lo, s14, v1
	v_cndmask_b32_e32 v1, v1, v9, vcc_lo
	s_delay_alu instid0(VALU_DEP_1) | instskip(NEXT) | instid1(VALU_DEP_1)
	v_xor_b32_e32 v1, v1, v7
	v_sub_nc_u32_e32 v12, v1, v7
	s_delay_alu instid0(VALU_DEP_1)
	v_ashrrev_i32_e32 v13, 31, v12
	s_cbranch_scc0 .LBB23_9
; %bb.6:
	s_delay_alu instid0(VALU_DEP_1)
	v_mov_b64_e32 v[10:11], v[12:13]
	s_and_not1_b32 vcc_lo, exec_lo, s12
	s_cbranch_vccnz .LBB23_8
; %bb.7:
	s_wait_kmcnt 0x0
	v_mul_u64_e32 v[10:11], s[6:7], v[12:13]
.LBB23_8:
	s_mov_b32 s13, 0
.LBB23_9:
	s_delay_alu instid0(SALU_CYCLE_1)
	s_and_not1_b32 vcc_lo, exec_lo, s13
	s_cbranch_vccnz .LBB23_13
; %bb.10:
	s_and_not1_b32 vcc_lo, exec_lo, s8
	s_cbranch_vccnz .LBB23_12
; %bb.11:
	s_wait_kmcnt 0x0
	v_mul_u64_e32 v[12:13], s[6:7], v[12:13]
.LBB23_12:
	s_delay_alu instid0(VALU_DEP_1)
	v_mov_b64_e32 v[10:11], v[12:13]
.LBB23_13:
	s_cmp_eq_u32 s11, 1
	v_mov_b32_e32 v9, 0
	s_cselect_b32 s8, -1, 0
	s_cmp_eq_u32 s9, 0x6f
	s_cselect_b32 s10, -1, 0
	s_cmp_lg_u32 s9, 0x6f
	s_cselect_b32 s9, -1, 0
	s_cmp_lg_u32 s11, 1
	s_cbranch_scc0 .LBB23_17
; %bb.14:
	v_mov_b64_e32 v[12:13], v[8:9]
	s_and_not1_b32 vcc_lo, exec_lo, s9
	s_cbranch_vccnz .LBB23_16
; %bb.15:
	v_mul_u64_e32 v[12:13], s[4:5], v[8:9]
.LBB23_16:
	s_cbranch_execz .LBB23_18
	s_branch .LBB23_21
.LBB23_17:
                                        ; implicit-def: $vgpr12_vgpr13
.LBB23_18:
	s_and_not1_b32 vcc_lo, exec_lo, s10
	s_cbranch_vccnz .LBB23_20
; %bb.19:
	v_mul_u64_e32 v[8:9], s[4:5], v[8:9]
.LBB23_20:
	s_delay_alu instid0(VALU_DEP_1)
	v_mov_b64_e32 v[12:13], v[8:9]
.LBB23_21:
	s_cmp_lt_i32 s2, 1
	s_cbranch_scc1 .LBB23_24
; %bb.22:
	s_clause 0x1
	s_load_b64 s[14:15], s[0:1], 0x38
	s_load_b64 s[16:17], s[0:1], 0x28
	s_xor_b32 s3, s12, s3
	v_mov_b32_e32 v8, 0
	s_and_b32 s3, s3, exec_lo
	s_wait_kmcnt 0x0
	s_cselect_b32 s7, 0, s7
	s_cselect_b32 s6, 1, s6
	s_xor_b32 s3, s10, s8
	v_mov_b32_e32 v9, v8
	s_and_b32 s3, s3, exec_lo
	s_cselect_b32 s9, s5, 0
	s_cselect_b32 s8, s4, 1
	s_lshl_b64 s[4:5], s[6:7], 3
	s_lshl_b64 s[6:7], s[8:9], 3
	s_delay_alu instid0(VALU_DEP_3) | instskip(SKIP_1) | instid1(VALU_DEP_2)
	v_lshl_add_u64 v[12:13], v[12:13], 3, s[14:15]
	v_lshl_add_u64 v[10:11], v[10:11], 3, s[16:17]
	v_add_nc_u64_e32 v[12:13], 4, v[12:13]
.LBB23_23:                              ; =>This Inner Loop Header: Depth=1
	global_load_b64 v[14:15], v[10:11], off
	global_load_b64 v[16:17], v[12:13], off offset:-4
	s_wait_xcnt 0x1
	v_add_nc_u64_e32 v[10:11], s[4:5], v[10:11]
	s_wait_xcnt 0x0
	v_add_nc_u64_e32 v[12:13], s[6:7], v[12:13]
	s_add_co_i32 s2, s2, -1
	s_delay_alu instid0(SALU_CYCLE_1) | instskip(SKIP_2) | instid1(VALU_DEP_1)
	s_cmp_eq_u32 s2, 0
	s_wait_loadcnt 0x0
	v_pk_mul_f32 v[18:19], v[16:17], v[14:15] op_sel:[1,1] op_sel_hi:[1,0] neg_lo:[0,1]
	v_pk_fma_f32 v[14:15], v[14:15], v[16:17], v[18:19] op_sel_hi:[1,0,1]
	s_delay_alu instid0(VALU_DEP_1)
	v_pk_add_f32 v[8:9], v[8:9], v[14:15]
	s_cbranch_scc0 .LBB23_23
	s_branch .LBB23_25
.LBB23_24:
	v_mov_b32_e32 v9, 0
	s_delay_alu instid0(VALU_DEP_1)
	v_mov_b32_e32 v8, v9
.LBB23_25:
	s_wait_xcnt 0x0
	s_load_b64 s[0:1], s[0:1], 0x50
	v_lshlrev_b32_e32 v10, 3, v0
	ds_store_b64 v10, v[8:9]
	s_wait_dscnt 0x0
	s_barrier_signal -1
	s_barrier_wait -1
	ds_load_b64 v[8:9], v10
	v_mov_b32_e32 v10, v5
	s_wait_kmcnt 0x0
	v_lshl_add_u64 v[0:1], v[6:7], 3, s[0:1]
	global_load_b64 v[6:7], v[0:1], off
	s_wait_dscnt 0x0
	v_pk_mul_f32 v[12:13], v[8:9], v[2:3] op_sel:[1,1] op_sel_hi:[1,0] neg_lo:[0,1]
	s_delay_alu instid0(VALU_DEP_1) | instskip(SKIP_2) | instid1(VALU_DEP_1)
	v_pk_fma_f32 v[2:3], v[2:3], v[8:9], v[12:13] op_sel_hi:[1,0,1]
	s_wait_loadcnt 0x0
	v_pk_mul_f32 v[10:11], v[10:11], v[6:7] op_sel:[0,1] op_sel_hi:[0,0] neg_lo:[0,1]
	v_pk_fma_f32 v[4:5], v[6:7], v[4:5], v[10:11] op_sel_hi:[1,0,1]
	s_delay_alu instid0(VALU_DEP_1)
	v_pk_add_f32 v[2:3], v[2:3], v[4:5]
	global_store_b64 v[0:1], v[2:3], off
.LBB23_26:
	s_endpgm
	.section	.rodata,"a",@progbits
	.p2align	6, 0x0
	.amdhsa_kernel _ZN9rocsparseL16sddmm_ell_kernelILi512ELi1E21rocsparse_complex_numIfEiiS2_S2_S2_EEv20rocsparse_operation_S3_16rocsparse_order_S4_T3_S5_S5_T2_NS_24const_host_device_scalarIT1_EEPKT4_lPKT5_lS9_PT6_PKS5_21rocsparse_index_base_b
		.amdhsa_group_segment_fixed_size 4096
		.amdhsa_private_segment_fixed_size 0
		.amdhsa_kernarg_size 104
		.amdhsa_user_sgpr_count 2
		.amdhsa_user_sgpr_dispatch_ptr 0
		.amdhsa_user_sgpr_queue_ptr 0
		.amdhsa_user_sgpr_kernarg_segment_ptr 1
		.amdhsa_user_sgpr_dispatch_id 0
		.amdhsa_user_sgpr_kernarg_preload_length 0
		.amdhsa_user_sgpr_kernarg_preload_offset 0
		.amdhsa_user_sgpr_private_segment_size 0
		.amdhsa_wavefront_size32 1
		.amdhsa_uses_dynamic_stack 0
		.amdhsa_enable_private_segment 0
		.amdhsa_system_sgpr_workgroup_id_x 1
		.amdhsa_system_sgpr_workgroup_id_y 0
		.amdhsa_system_sgpr_workgroup_id_z 0
		.amdhsa_system_sgpr_workgroup_info 0
		.amdhsa_system_vgpr_workitem_id 0
		.amdhsa_next_free_vgpr 20
		.amdhsa_next_free_sgpr 18
		.amdhsa_named_barrier_count 0
		.amdhsa_reserve_vcc 1
		.amdhsa_float_round_mode_32 0
		.amdhsa_float_round_mode_16_64 0
		.amdhsa_float_denorm_mode_32 3
		.amdhsa_float_denorm_mode_16_64 3
		.amdhsa_fp16_overflow 0
		.amdhsa_memory_ordered 1
		.amdhsa_forward_progress 1
		.amdhsa_inst_pref_size 9
		.amdhsa_round_robin_scheduling 0
		.amdhsa_exception_fp_ieee_invalid_op 0
		.amdhsa_exception_fp_denorm_src 0
		.amdhsa_exception_fp_ieee_div_zero 0
		.amdhsa_exception_fp_ieee_overflow 0
		.amdhsa_exception_fp_ieee_underflow 0
		.amdhsa_exception_fp_ieee_inexact 0
		.amdhsa_exception_int_div_zero 0
	.end_amdhsa_kernel
	.section	.text._ZN9rocsparseL16sddmm_ell_kernelILi512ELi1E21rocsparse_complex_numIfEiiS2_S2_S2_EEv20rocsparse_operation_S3_16rocsparse_order_S4_T3_S5_S5_T2_NS_24const_host_device_scalarIT1_EEPKT4_lPKT5_lS9_PT6_PKS5_21rocsparse_index_base_b,"axG",@progbits,_ZN9rocsparseL16sddmm_ell_kernelILi512ELi1E21rocsparse_complex_numIfEiiS2_S2_S2_EEv20rocsparse_operation_S3_16rocsparse_order_S4_T3_S5_S5_T2_NS_24const_host_device_scalarIT1_EEPKT4_lPKT5_lS9_PT6_PKS5_21rocsparse_index_base_b,comdat
.Lfunc_end23:
	.size	_ZN9rocsparseL16sddmm_ell_kernelILi512ELi1E21rocsparse_complex_numIfEiiS2_S2_S2_EEv20rocsparse_operation_S3_16rocsparse_order_S4_T3_S5_S5_T2_NS_24const_host_device_scalarIT1_EEPKT4_lPKT5_lS9_PT6_PKS5_21rocsparse_index_base_b, .Lfunc_end23-_ZN9rocsparseL16sddmm_ell_kernelILi512ELi1E21rocsparse_complex_numIfEiiS2_S2_S2_EEv20rocsparse_operation_S3_16rocsparse_order_S4_T3_S5_S5_T2_NS_24const_host_device_scalarIT1_EEPKT4_lPKT5_lS9_PT6_PKS5_21rocsparse_index_base_b
                                        ; -- End function
	.set _ZN9rocsparseL16sddmm_ell_kernelILi512ELi1E21rocsparse_complex_numIfEiiS2_S2_S2_EEv20rocsparse_operation_S3_16rocsparse_order_S4_T3_S5_S5_T2_NS_24const_host_device_scalarIT1_EEPKT4_lPKT5_lS9_PT6_PKS5_21rocsparse_index_base_b.num_vgpr, 20
	.set _ZN9rocsparseL16sddmm_ell_kernelILi512ELi1E21rocsparse_complex_numIfEiiS2_S2_S2_EEv20rocsparse_operation_S3_16rocsparse_order_S4_T3_S5_S5_T2_NS_24const_host_device_scalarIT1_EEPKT4_lPKT5_lS9_PT6_PKS5_21rocsparse_index_base_b.num_agpr, 0
	.set _ZN9rocsparseL16sddmm_ell_kernelILi512ELi1E21rocsparse_complex_numIfEiiS2_S2_S2_EEv20rocsparse_operation_S3_16rocsparse_order_S4_T3_S5_S5_T2_NS_24const_host_device_scalarIT1_EEPKT4_lPKT5_lS9_PT6_PKS5_21rocsparse_index_base_b.numbered_sgpr, 18
	.set _ZN9rocsparseL16sddmm_ell_kernelILi512ELi1E21rocsparse_complex_numIfEiiS2_S2_S2_EEv20rocsparse_operation_S3_16rocsparse_order_S4_T3_S5_S5_T2_NS_24const_host_device_scalarIT1_EEPKT4_lPKT5_lS9_PT6_PKS5_21rocsparse_index_base_b.num_named_barrier, 0
	.set _ZN9rocsparseL16sddmm_ell_kernelILi512ELi1E21rocsparse_complex_numIfEiiS2_S2_S2_EEv20rocsparse_operation_S3_16rocsparse_order_S4_T3_S5_S5_T2_NS_24const_host_device_scalarIT1_EEPKT4_lPKT5_lS9_PT6_PKS5_21rocsparse_index_base_b.private_seg_size, 0
	.set _ZN9rocsparseL16sddmm_ell_kernelILi512ELi1E21rocsparse_complex_numIfEiiS2_S2_S2_EEv20rocsparse_operation_S3_16rocsparse_order_S4_T3_S5_S5_T2_NS_24const_host_device_scalarIT1_EEPKT4_lPKT5_lS9_PT6_PKS5_21rocsparse_index_base_b.uses_vcc, 1
	.set _ZN9rocsparseL16sddmm_ell_kernelILi512ELi1E21rocsparse_complex_numIfEiiS2_S2_S2_EEv20rocsparse_operation_S3_16rocsparse_order_S4_T3_S5_S5_T2_NS_24const_host_device_scalarIT1_EEPKT4_lPKT5_lS9_PT6_PKS5_21rocsparse_index_base_b.uses_flat_scratch, 0
	.set _ZN9rocsparseL16sddmm_ell_kernelILi512ELi1E21rocsparse_complex_numIfEiiS2_S2_S2_EEv20rocsparse_operation_S3_16rocsparse_order_S4_T3_S5_S5_T2_NS_24const_host_device_scalarIT1_EEPKT4_lPKT5_lS9_PT6_PKS5_21rocsparse_index_base_b.has_dyn_sized_stack, 0
	.set _ZN9rocsparseL16sddmm_ell_kernelILi512ELi1E21rocsparse_complex_numIfEiiS2_S2_S2_EEv20rocsparse_operation_S3_16rocsparse_order_S4_T3_S5_S5_T2_NS_24const_host_device_scalarIT1_EEPKT4_lPKT5_lS9_PT6_PKS5_21rocsparse_index_base_b.has_recursion, 0
	.set _ZN9rocsparseL16sddmm_ell_kernelILi512ELi1E21rocsparse_complex_numIfEiiS2_S2_S2_EEv20rocsparse_operation_S3_16rocsparse_order_S4_T3_S5_S5_T2_NS_24const_host_device_scalarIT1_EEPKT4_lPKT5_lS9_PT6_PKS5_21rocsparse_index_base_b.has_indirect_call, 0
	.section	.AMDGPU.csdata,"",@progbits
; Kernel info:
; codeLenInByte = 1040
; TotalNumSgprs: 20
; NumVgprs: 20
; ScratchSize: 0
; MemoryBound: 0
; FloatMode: 240
; IeeeMode: 1
; LDSByteSize: 4096 bytes/workgroup (compile time only)
; SGPRBlocks: 0
; VGPRBlocks: 1
; NumSGPRsForWavesPerEU: 20
; NumVGPRsForWavesPerEU: 20
; NamedBarCnt: 0
; Occupancy: 16
; WaveLimiterHint : 0
; COMPUTE_PGM_RSRC2:SCRATCH_EN: 0
; COMPUTE_PGM_RSRC2:USER_SGPR: 2
; COMPUTE_PGM_RSRC2:TRAP_HANDLER: 0
; COMPUTE_PGM_RSRC2:TGID_X_EN: 1
; COMPUTE_PGM_RSRC2:TGID_Y_EN: 0
; COMPUTE_PGM_RSRC2:TGID_Z_EN: 0
; COMPUTE_PGM_RSRC2:TIDIG_COMP_CNT: 0
	.section	.text._ZN9rocsparseL23sddmm_ell_sample_kernelILi16ELi32E21rocsparse_complex_numIdEiS2_EEvT2_S3_PKT3_lS3_PS4_PKS3_21rocsparse_index_base_,"axG",@progbits,_ZN9rocsparseL23sddmm_ell_sample_kernelILi16ELi32E21rocsparse_complex_numIdEiS2_EEvT2_S3_PKT3_lS3_PS4_PKS3_21rocsparse_index_base_,comdat
	.globl	_ZN9rocsparseL23sddmm_ell_sample_kernelILi16ELi32E21rocsparse_complex_numIdEiS2_EEvT2_S3_PKT3_lS3_PS4_PKS3_21rocsparse_index_base_ ; -- Begin function _ZN9rocsparseL23sddmm_ell_sample_kernelILi16ELi32E21rocsparse_complex_numIdEiS2_EEvT2_S3_PKT3_lS3_PS4_PKS3_21rocsparse_index_base_
	.p2align	8
	.type	_ZN9rocsparseL23sddmm_ell_sample_kernelILi16ELi32E21rocsparse_complex_numIdEiS2_EEvT2_S3_PKT3_lS3_PS4_PKS3_21rocsparse_index_base_,@function
_ZN9rocsparseL23sddmm_ell_sample_kernelILi16ELi32E21rocsparse_complex_numIdEiS2_EEvT2_S3_PKT3_lS3_PS4_PKS3_21rocsparse_index_base_: ; @_ZN9rocsparseL23sddmm_ell_sample_kernelILi16ELi32E21rocsparse_complex_numIdEiS2_EEvT2_S3_PKT3_lS3_PS4_PKS3_21rocsparse_index_base_
; %bb.0:
	s_load_b32 s2, s[0:1], 0x18
	s_bfe_u32 s3, ttmp6, 0x4000c
	s_and_b32 s4, ttmp6, 15
	s_add_co_i32 s3, s3, 1
	s_getreg_b32 s5, hwreg(HW_REG_IB_STS2, 6, 4)
	s_mul_i32 s3, ttmp9, s3
	v_lshrrev_b32_e32 v1, 5, v0
	s_add_co_i32 s4, s4, s3
	s_cmp_eq_u32 s5, 0
	s_cselect_b32 s3, ttmp9, s4
	s_delay_alu instid0(VALU_DEP_1) | instid1(SALU_CYCLE_1)
	v_lshl_or_b32 v2, s3, 4, v1
	s_wait_kmcnt 0x0
	s_delay_alu instid0(VALU_DEP_1)
	v_cmp_gt_u32_e32 vcc_lo, s2, v2
	s_and_saveexec_b32 s2, vcc_lo
	s_cbranch_execz .LBB24_6
; %bb.1:
	s_load_b64 s[2:3], s[0:1], 0x0
	v_and_b32_e32 v4, 31, v0
	s_wait_kmcnt 0x0
	s_delay_alu instid0(VALU_DEP_1)
	v_cmp_gt_i32_e32 vcc_lo, s2, v4
	s_and_b32 exec_lo, exec_lo, vcc_lo
	s_cbranch_execz .LBB24_6
; %bb.2:
	s_clause 0x2
	s_load_b128 s[12:15], s[0:1], 0x8
	s_load_b128 s[4:7], s[0:1], 0x20
	s_load_b32 s10, s[0:1], 0x30
	v_dual_mov_b32 v1, 0 :: v_dual_bitop2_b32 v0, 31, v0 bitop3:0x40
	v_mul_lo_u32 v5, v2, s2
	s_wait_xcnt 0x0
	s_mov_b32 s1, 0
	s_delay_alu instid0(VALU_DEP_2) | instskip(SKIP_1) | instid1(VALU_DEP_1)
	v_lshlrev_b32_e32 v0, 4, v0
	s_wait_kmcnt 0x0
	v_add_nc_u64_e32 v[2:3], s[12:13], v[0:1]
	s_lshl_b64 s[8:9], s[14:15], 4
	s_branch .LBB24_4
.LBB24_3:                               ;   in Loop: Header=BB24_4 Depth=1
	s_wait_xcnt 0x0
	s_or_b32 exec_lo, exec_lo, s0
	v_add_nc_u32_e32 v4, 32, v4
	v_add_nc_u64_e32 v[2:3], 0x200, v[2:3]
	s_delay_alu instid0(VALU_DEP_2) | instskip(SKIP_1) | instid1(SALU_CYCLE_1)
	v_cmp_le_i32_e32 vcc_lo, s2, v4
	s_or_b32 s1, vcc_lo, s1
	s_and_not1_b32 exec_lo, exec_lo, s1
	s_cbranch_execz .LBB24_6
.LBB24_4:                               ; =>This Inner Loop Header: Depth=1
	s_delay_alu instid0(VALU_DEP_3) | instskip(SKIP_3) | instid1(VALU_DEP_1)
	v_add_nc_u32_e32 v0, v5, v4
	global_load_b32 v6, v0, s[6:7] scale_offset
	s_wait_loadcnt 0x0
	v_subrev_nc_u32_e32 v6, s10, v6
	v_cmp_lt_i32_e32 vcc_lo, -1, v6
	v_cmp_gt_i32_e64 s0, s3, v6
	s_and_b32 s11, vcc_lo, s0
	s_wait_xcnt 0x0
	s_and_saveexec_b32 s0, s11
	s_cbranch_execz .LBB24_3
; %bb.5:                                ;   in Loop: Header=BB24_4 Depth=1
	v_mad_nc_u64_u32 v[8:9], s8, v6, v[2:3]
	v_lshl_add_u64 v[10:11], v[0:1], 4, s[4:5]
	s_delay_alu instid0(VALU_DEP_2)
	v_mad_u32 v9, s9, v6, v9
	global_load_b128 v[6:9], v[8:9], off
	s_wait_loadcnt 0x0
	global_store_b128 v[10:11], v[6:9], off
	s_branch .LBB24_3
.LBB24_6:
	s_endpgm
	.section	.rodata,"a",@progbits
	.p2align	6, 0x0
	.amdhsa_kernel _ZN9rocsparseL23sddmm_ell_sample_kernelILi16ELi32E21rocsparse_complex_numIdEiS2_EEvT2_S3_PKT3_lS3_PS4_PKS3_21rocsparse_index_base_
		.amdhsa_group_segment_fixed_size 0
		.amdhsa_private_segment_fixed_size 0
		.amdhsa_kernarg_size 52
		.amdhsa_user_sgpr_count 2
		.amdhsa_user_sgpr_dispatch_ptr 0
		.amdhsa_user_sgpr_queue_ptr 0
		.amdhsa_user_sgpr_kernarg_segment_ptr 1
		.amdhsa_user_sgpr_dispatch_id 0
		.amdhsa_user_sgpr_kernarg_preload_length 0
		.amdhsa_user_sgpr_kernarg_preload_offset 0
		.amdhsa_user_sgpr_private_segment_size 0
		.amdhsa_wavefront_size32 1
		.amdhsa_uses_dynamic_stack 0
		.amdhsa_enable_private_segment 0
		.amdhsa_system_sgpr_workgroup_id_x 1
		.amdhsa_system_sgpr_workgroup_id_y 0
		.amdhsa_system_sgpr_workgroup_id_z 0
		.amdhsa_system_sgpr_workgroup_info 0
		.amdhsa_system_vgpr_workitem_id 0
		.amdhsa_next_free_vgpr 12
		.amdhsa_next_free_sgpr 16
		.amdhsa_named_barrier_count 0
		.amdhsa_reserve_vcc 1
		.amdhsa_float_round_mode_32 0
		.amdhsa_float_round_mode_16_64 0
		.amdhsa_float_denorm_mode_32 3
		.amdhsa_float_denorm_mode_16_64 3
		.amdhsa_fp16_overflow 0
		.amdhsa_memory_ordered 1
		.amdhsa_forward_progress 1
		.amdhsa_inst_pref_size 3
		.amdhsa_round_robin_scheduling 0
		.amdhsa_exception_fp_ieee_invalid_op 0
		.amdhsa_exception_fp_denorm_src 0
		.amdhsa_exception_fp_ieee_div_zero 0
		.amdhsa_exception_fp_ieee_overflow 0
		.amdhsa_exception_fp_ieee_underflow 0
		.amdhsa_exception_fp_ieee_inexact 0
		.amdhsa_exception_int_div_zero 0
	.end_amdhsa_kernel
	.section	.text._ZN9rocsparseL23sddmm_ell_sample_kernelILi16ELi32E21rocsparse_complex_numIdEiS2_EEvT2_S3_PKT3_lS3_PS4_PKS3_21rocsparse_index_base_,"axG",@progbits,_ZN9rocsparseL23sddmm_ell_sample_kernelILi16ELi32E21rocsparse_complex_numIdEiS2_EEvT2_S3_PKT3_lS3_PS4_PKS3_21rocsparse_index_base_,comdat
.Lfunc_end24:
	.size	_ZN9rocsparseL23sddmm_ell_sample_kernelILi16ELi32E21rocsparse_complex_numIdEiS2_EEvT2_S3_PKT3_lS3_PS4_PKS3_21rocsparse_index_base_, .Lfunc_end24-_ZN9rocsparseL23sddmm_ell_sample_kernelILi16ELi32E21rocsparse_complex_numIdEiS2_EEvT2_S3_PKT3_lS3_PS4_PKS3_21rocsparse_index_base_
                                        ; -- End function
	.set _ZN9rocsparseL23sddmm_ell_sample_kernelILi16ELi32E21rocsparse_complex_numIdEiS2_EEvT2_S3_PKT3_lS3_PS4_PKS3_21rocsparse_index_base_.num_vgpr, 12
	.set _ZN9rocsparseL23sddmm_ell_sample_kernelILi16ELi32E21rocsparse_complex_numIdEiS2_EEvT2_S3_PKT3_lS3_PS4_PKS3_21rocsparse_index_base_.num_agpr, 0
	.set _ZN9rocsparseL23sddmm_ell_sample_kernelILi16ELi32E21rocsparse_complex_numIdEiS2_EEvT2_S3_PKT3_lS3_PS4_PKS3_21rocsparse_index_base_.numbered_sgpr, 16
	.set _ZN9rocsparseL23sddmm_ell_sample_kernelILi16ELi32E21rocsparse_complex_numIdEiS2_EEvT2_S3_PKT3_lS3_PS4_PKS3_21rocsparse_index_base_.num_named_barrier, 0
	.set _ZN9rocsparseL23sddmm_ell_sample_kernelILi16ELi32E21rocsparse_complex_numIdEiS2_EEvT2_S3_PKT3_lS3_PS4_PKS3_21rocsparse_index_base_.private_seg_size, 0
	.set _ZN9rocsparseL23sddmm_ell_sample_kernelILi16ELi32E21rocsparse_complex_numIdEiS2_EEvT2_S3_PKT3_lS3_PS4_PKS3_21rocsparse_index_base_.uses_vcc, 1
	.set _ZN9rocsparseL23sddmm_ell_sample_kernelILi16ELi32E21rocsparse_complex_numIdEiS2_EEvT2_S3_PKT3_lS3_PS4_PKS3_21rocsparse_index_base_.uses_flat_scratch, 0
	.set _ZN9rocsparseL23sddmm_ell_sample_kernelILi16ELi32E21rocsparse_complex_numIdEiS2_EEvT2_S3_PKT3_lS3_PS4_PKS3_21rocsparse_index_base_.has_dyn_sized_stack, 0
	.set _ZN9rocsparseL23sddmm_ell_sample_kernelILi16ELi32E21rocsparse_complex_numIdEiS2_EEvT2_S3_PKT3_lS3_PS4_PKS3_21rocsparse_index_base_.has_recursion, 0
	.set _ZN9rocsparseL23sddmm_ell_sample_kernelILi16ELi32E21rocsparse_complex_numIdEiS2_EEvT2_S3_PKT3_lS3_PS4_PKS3_21rocsparse_index_base_.has_indirect_call, 0
	.section	.AMDGPU.csdata,"",@progbits
; Kernel info:
; codeLenInByte = 352
; TotalNumSgprs: 18
; NumVgprs: 12
; ScratchSize: 0
; MemoryBound: 0
; FloatMode: 240
; IeeeMode: 1
; LDSByteSize: 0 bytes/workgroup (compile time only)
; SGPRBlocks: 0
; VGPRBlocks: 0
; NumSGPRsForWavesPerEU: 18
; NumVGPRsForWavesPerEU: 12
; NamedBarCnt: 0
; Occupancy: 16
; WaveLimiterHint : 0
; COMPUTE_PGM_RSRC2:SCRATCH_EN: 0
; COMPUTE_PGM_RSRC2:USER_SGPR: 2
; COMPUTE_PGM_RSRC2:TRAP_HANDLER: 0
; COMPUTE_PGM_RSRC2:TGID_X_EN: 1
; COMPUTE_PGM_RSRC2:TGID_Y_EN: 0
; COMPUTE_PGM_RSRC2:TGID_Z_EN: 0
; COMPUTE_PGM_RSRC2:TIDIG_COMP_CNT: 0
	.section	.text._ZN9rocsparseL23sddmm_ell_sample_kernelILi16ELi64E21rocsparse_complex_numIdEiS2_EEvT2_S3_PKT3_lS3_PS4_PKS3_21rocsparse_index_base_,"axG",@progbits,_ZN9rocsparseL23sddmm_ell_sample_kernelILi16ELi64E21rocsparse_complex_numIdEiS2_EEvT2_S3_PKT3_lS3_PS4_PKS3_21rocsparse_index_base_,comdat
	.globl	_ZN9rocsparseL23sddmm_ell_sample_kernelILi16ELi64E21rocsparse_complex_numIdEiS2_EEvT2_S3_PKT3_lS3_PS4_PKS3_21rocsparse_index_base_ ; -- Begin function _ZN9rocsparseL23sddmm_ell_sample_kernelILi16ELi64E21rocsparse_complex_numIdEiS2_EEvT2_S3_PKT3_lS3_PS4_PKS3_21rocsparse_index_base_
	.p2align	8
	.type	_ZN9rocsparseL23sddmm_ell_sample_kernelILi16ELi64E21rocsparse_complex_numIdEiS2_EEvT2_S3_PKT3_lS3_PS4_PKS3_21rocsparse_index_base_,@function
_ZN9rocsparseL23sddmm_ell_sample_kernelILi16ELi64E21rocsparse_complex_numIdEiS2_EEvT2_S3_PKT3_lS3_PS4_PKS3_21rocsparse_index_base_: ; @_ZN9rocsparseL23sddmm_ell_sample_kernelILi16ELi64E21rocsparse_complex_numIdEiS2_EEvT2_S3_PKT3_lS3_PS4_PKS3_21rocsparse_index_base_
; %bb.0:
	s_load_b32 s2, s[0:1], 0x18
	s_bfe_u32 s3, ttmp6, 0x4000c
	s_and_b32 s4, ttmp6, 15
	s_add_co_i32 s3, s3, 1
	s_getreg_b32 s5, hwreg(HW_REG_IB_STS2, 6, 4)
	s_mul_i32 s3, ttmp9, s3
	v_lshrrev_b32_e32 v1, 6, v0
	s_add_co_i32 s4, s4, s3
	s_cmp_eq_u32 s5, 0
	s_cselect_b32 s3, ttmp9, s4
	s_delay_alu instid0(VALU_DEP_1) | instid1(SALU_CYCLE_1)
	v_lshl_or_b32 v2, s3, 4, v1
	s_wait_kmcnt 0x0
	s_delay_alu instid0(VALU_DEP_1)
	v_cmp_gt_u32_e32 vcc_lo, s2, v2
	s_and_saveexec_b32 s2, vcc_lo
	s_cbranch_execz .LBB25_6
; %bb.1:
	s_load_b64 s[2:3], s[0:1], 0x0
	v_and_b32_e32 v4, 63, v0
	s_wait_kmcnt 0x0
	s_delay_alu instid0(VALU_DEP_1)
	v_cmp_gt_i32_e32 vcc_lo, s2, v4
	s_and_b32 exec_lo, exec_lo, vcc_lo
	s_cbranch_execz .LBB25_6
; %bb.2:
	s_clause 0x2
	s_load_b128 s[12:15], s[0:1], 0x8
	s_load_b128 s[4:7], s[0:1], 0x20
	s_load_b32 s10, s[0:1], 0x30
	v_dual_mov_b32 v1, 0 :: v_dual_bitop2_b32 v0, 63, v0 bitop3:0x40
	v_mul_lo_u32 v5, v2, s2
	s_wait_xcnt 0x0
	s_mov_b32 s1, 0
	s_delay_alu instid0(VALU_DEP_2) | instskip(SKIP_1) | instid1(VALU_DEP_1)
	v_lshlrev_b32_e32 v0, 4, v0
	s_wait_kmcnt 0x0
	v_add_nc_u64_e32 v[2:3], s[12:13], v[0:1]
	s_lshl_b64 s[8:9], s[14:15], 4
	s_branch .LBB25_4
.LBB25_3:                               ;   in Loop: Header=BB25_4 Depth=1
	s_wait_xcnt 0x0
	s_or_b32 exec_lo, exec_lo, s0
	v_add_nc_u32_e32 v4, 64, v4
	v_add_nc_u64_e32 v[2:3], 0x400, v[2:3]
	s_delay_alu instid0(VALU_DEP_2) | instskip(SKIP_1) | instid1(SALU_CYCLE_1)
	v_cmp_le_i32_e32 vcc_lo, s2, v4
	s_or_b32 s1, vcc_lo, s1
	s_and_not1_b32 exec_lo, exec_lo, s1
	s_cbranch_execz .LBB25_6
.LBB25_4:                               ; =>This Inner Loop Header: Depth=1
	s_delay_alu instid0(VALU_DEP_3) | instskip(SKIP_3) | instid1(VALU_DEP_1)
	v_add_nc_u32_e32 v0, v5, v4
	global_load_b32 v6, v0, s[6:7] scale_offset
	s_wait_loadcnt 0x0
	v_subrev_nc_u32_e32 v6, s10, v6
	v_cmp_lt_i32_e32 vcc_lo, -1, v6
	v_cmp_gt_i32_e64 s0, s3, v6
	s_and_b32 s11, vcc_lo, s0
	s_wait_xcnt 0x0
	s_and_saveexec_b32 s0, s11
	s_cbranch_execz .LBB25_3
; %bb.5:                                ;   in Loop: Header=BB25_4 Depth=1
	v_mad_nc_u64_u32 v[8:9], s8, v6, v[2:3]
	v_lshl_add_u64 v[10:11], v[0:1], 4, s[4:5]
	s_delay_alu instid0(VALU_DEP_2)
	v_mad_u32 v9, s9, v6, v9
	global_load_b128 v[6:9], v[8:9], off
	s_wait_loadcnt 0x0
	global_store_b128 v[10:11], v[6:9], off
	s_branch .LBB25_3
.LBB25_6:
	s_endpgm
	.section	.rodata,"a",@progbits
	.p2align	6, 0x0
	.amdhsa_kernel _ZN9rocsparseL23sddmm_ell_sample_kernelILi16ELi64E21rocsparse_complex_numIdEiS2_EEvT2_S3_PKT3_lS3_PS4_PKS3_21rocsparse_index_base_
		.amdhsa_group_segment_fixed_size 0
		.amdhsa_private_segment_fixed_size 0
		.amdhsa_kernarg_size 52
		.amdhsa_user_sgpr_count 2
		.amdhsa_user_sgpr_dispatch_ptr 0
		.amdhsa_user_sgpr_queue_ptr 0
		.amdhsa_user_sgpr_kernarg_segment_ptr 1
		.amdhsa_user_sgpr_dispatch_id 0
		.amdhsa_user_sgpr_kernarg_preload_length 0
		.amdhsa_user_sgpr_kernarg_preload_offset 0
		.amdhsa_user_sgpr_private_segment_size 0
		.amdhsa_wavefront_size32 1
		.amdhsa_uses_dynamic_stack 0
		.amdhsa_enable_private_segment 0
		.amdhsa_system_sgpr_workgroup_id_x 1
		.amdhsa_system_sgpr_workgroup_id_y 0
		.amdhsa_system_sgpr_workgroup_id_z 0
		.amdhsa_system_sgpr_workgroup_info 0
		.amdhsa_system_vgpr_workitem_id 0
		.amdhsa_next_free_vgpr 12
		.amdhsa_next_free_sgpr 16
		.amdhsa_named_barrier_count 0
		.amdhsa_reserve_vcc 1
		.amdhsa_float_round_mode_32 0
		.amdhsa_float_round_mode_16_64 0
		.amdhsa_float_denorm_mode_32 3
		.amdhsa_float_denorm_mode_16_64 3
		.amdhsa_fp16_overflow 0
		.amdhsa_memory_ordered 1
		.amdhsa_forward_progress 1
		.amdhsa_inst_pref_size 3
		.amdhsa_round_robin_scheduling 0
		.amdhsa_exception_fp_ieee_invalid_op 0
		.amdhsa_exception_fp_denorm_src 0
		.amdhsa_exception_fp_ieee_div_zero 0
		.amdhsa_exception_fp_ieee_overflow 0
		.amdhsa_exception_fp_ieee_underflow 0
		.amdhsa_exception_fp_ieee_inexact 0
		.amdhsa_exception_int_div_zero 0
	.end_amdhsa_kernel
	.section	.text._ZN9rocsparseL23sddmm_ell_sample_kernelILi16ELi64E21rocsparse_complex_numIdEiS2_EEvT2_S3_PKT3_lS3_PS4_PKS3_21rocsparse_index_base_,"axG",@progbits,_ZN9rocsparseL23sddmm_ell_sample_kernelILi16ELi64E21rocsparse_complex_numIdEiS2_EEvT2_S3_PKT3_lS3_PS4_PKS3_21rocsparse_index_base_,comdat
.Lfunc_end25:
	.size	_ZN9rocsparseL23sddmm_ell_sample_kernelILi16ELi64E21rocsparse_complex_numIdEiS2_EEvT2_S3_PKT3_lS3_PS4_PKS3_21rocsparse_index_base_, .Lfunc_end25-_ZN9rocsparseL23sddmm_ell_sample_kernelILi16ELi64E21rocsparse_complex_numIdEiS2_EEvT2_S3_PKT3_lS3_PS4_PKS3_21rocsparse_index_base_
                                        ; -- End function
	.set _ZN9rocsparseL23sddmm_ell_sample_kernelILi16ELi64E21rocsparse_complex_numIdEiS2_EEvT2_S3_PKT3_lS3_PS4_PKS3_21rocsparse_index_base_.num_vgpr, 12
	.set _ZN9rocsparseL23sddmm_ell_sample_kernelILi16ELi64E21rocsparse_complex_numIdEiS2_EEvT2_S3_PKT3_lS3_PS4_PKS3_21rocsparse_index_base_.num_agpr, 0
	.set _ZN9rocsparseL23sddmm_ell_sample_kernelILi16ELi64E21rocsparse_complex_numIdEiS2_EEvT2_S3_PKT3_lS3_PS4_PKS3_21rocsparse_index_base_.numbered_sgpr, 16
	.set _ZN9rocsparseL23sddmm_ell_sample_kernelILi16ELi64E21rocsparse_complex_numIdEiS2_EEvT2_S3_PKT3_lS3_PS4_PKS3_21rocsparse_index_base_.num_named_barrier, 0
	.set _ZN9rocsparseL23sddmm_ell_sample_kernelILi16ELi64E21rocsparse_complex_numIdEiS2_EEvT2_S3_PKT3_lS3_PS4_PKS3_21rocsparse_index_base_.private_seg_size, 0
	.set _ZN9rocsparseL23sddmm_ell_sample_kernelILi16ELi64E21rocsparse_complex_numIdEiS2_EEvT2_S3_PKT3_lS3_PS4_PKS3_21rocsparse_index_base_.uses_vcc, 1
	.set _ZN9rocsparseL23sddmm_ell_sample_kernelILi16ELi64E21rocsparse_complex_numIdEiS2_EEvT2_S3_PKT3_lS3_PS4_PKS3_21rocsparse_index_base_.uses_flat_scratch, 0
	.set _ZN9rocsparseL23sddmm_ell_sample_kernelILi16ELi64E21rocsparse_complex_numIdEiS2_EEvT2_S3_PKT3_lS3_PS4_PKS3_21rocsparse_index_base_.has_dyn_sized_stack, 0
	.set _ZN9rocsparseL23sddmm_ell_sample_kernelILi16ELi64E21rocsparse_complex_numIdEiS2_EEvT2_S3_PKT3_lS3_PS4_PKS3_21rocsparse_index_base_.has_recursion, 0
	.set _ZN9rocsparseL23sddmm_ell_sample_kernelILi16ELi64E21rocsparse_complex_numIdEiS2_EEvT2_S3_PKT3_lS3_PS4_PKS3_21rocsparse_index_base_.has_indirect_call, 0
	.section	.AMDGPU.csdata,"",@progbits
; Kernel info:
; codeLenInByte = 352
; TotalNumSgprs: 18
; NumVgprs: 12
; ScratchSize: 0
; MemoryBound: 0
; FloatMode: 240
; IeeeMode: 1
; LDSByteSize: 0 bytes/workgroup (compile time only)
; SGPRBlocks: 0
; VGPRBlocks: 0
; NumSGPRsForWavesPerEU: 18
; NumVGPRsForWavesPerEU: 12
; NamedBarCnt: 0
; Occupancy: 16
; WaveLimiterHint : 0
; COMPUTE_PGM_RSRC2:SCRATCH_EN: 0
; COMPUTE_PGM_RSRC2:USER_SGPR: 2
; COMPUTE_PGM_RSRC2:TRAP_HANDLER: 0
; COMPUTE_PGM_RSRC2:TGID_X_EN: 1
; COMPUTE_PGM_RSRC2:TGID_Y_EN: 0
; COMPUTE_PGM_RSRC2:TGID_Z_EN: 0
; COMPUTE_PGM_RSRC2:TIDIG_COMP_CNT: 0
	.section	.text._ZN9rocsparseL16sddmm_ell_kernelILi512ELi8E21rocsparse_complex_numIdEiiS2_S2_S2_EEv20rocsparse_operation_S3_16rocsparse_order_S4_T3_S5_S5_T2_NS_24const_host_device_scalarIT1_EEPKT4_lPKT5_lS9_PT6_PKS5_21rocsparse_index_base_b,"axG",@progbits,_ZN9rocsparseL16sddmm_ell_kernelILi512ELi8E21rocsparse_complex_numIdEiiS2_S2_S2_EEv20rocsparse_operation_S3_16rocsparse_order_S4_T3_S5_S5_T2_NS_24const_host_device_scalarIT1_EEPKT4_lPKT5_lS9_PT6_PKS5_21rocsparse_index_base_b,comdat
	.globl	_ZN9rocsparseL16sddmm_ell_kernelILi512ELi8E21rocsparse_complex_numIdEiiS2_S2_S2_EEv20rocsparse_operation_S3_16rocsparse_order_S4_T3_S5_S5_T2_NS_24const_host_device_scalarIT1_EEPKT4_lPKT5_lS9_PT6_PKS5_21rocsparse_index_base_b ; -- Begin function _ZN9rocsparseL16sddmm_ell_kernelILi512ELi8E21rocsparse_complex_numIdEiiS2_S2_S2_EEv20rocsparse_operation_S3_16rocsparse_order_S4_T3_S5_S5_T2_NS_24const_host_device_scalarIT1_EEPKT4_lPKT5_lS9_PT6_PKS5_21rocsparse_index_base_b
	.p2align	8
	.type	_ZN9rocsparseL16sddmm_ell_kernelILi512ELi8E21rocsparse_complex_numIdEiiS2_S2_S2_EEv20rocsparse_operation_S3_16rocsparse_order_S4_T3_S5_S5_T2_NS_24const_host_device_scalarIT1_EEPKT4_lPKT5_lS9_PT6_PKS5_21rocsparse_index_base_b,@function
_ZN9rocsparseL16sddmm_ell_kernelILi512ELi8E21rocsparse_complex_numIdEiiS2_S2_S2_EEv20rocsparse_operation_S3_16rocsparse_order_S4_T3_S5_S5_T2_NS_24const_host_device_scalarIT1_EEPKT4_lPKT5_lS9_PT6_PKS5_21rocsparse_index_base_b: ; @_ZN9rocsparseL16sddmm_ell_kernelILi512ELi8E21rocsparse_complex_numIdEiiS2_S2_S2_EEv20rocsparse_operation_S3_16rocsparse_order_S4_T3_S5_S5_T2_NS_24const_host_device_scalarIT1_EEPKT4_lPKT5_lS9_PT6_PKS5_21rocsparse_index_base_b
; %bb.0:
	s_clause 0x1
	s_load_b64 s[8:9], s[0:1], 0x70
	s_load_b64 s[2:3], s[0:1], 0x20
	v_mov_b32_e32 v1, 0
	s_add_nc_u64 s[10:11], s[0:1], 32
	s_load_b128 s[4:7], s[0:1], 0x48
	s_wait_kmcnt 0x0
	s_bitcmp1_b32 s9, 0
	s_cselect_b32 s3, s11, s3
	s_cselect_b32 s2, s10, s2
	flat_load_b128 v[2:5], v1, s[2:3]
	s_wait_xcnt 0x0
	s_add_nc_u64 s[2:3], s[0:1], 0x50
	s_delay_alu instid0(SALU_CYCLE_1)
	s_cselect_b32 s3, s3, s7
	s_cselect_b32 s2, s2, s6
	flat_load_b128 v[6:9], v1, s[2:3]
	s_wait_loadcnt_dscnt 0x101
	v_cmp_eq_f64_e32 vcc_lo, 0, v[2:3]
	s_wait_xcnt 0x0
	v_cmp_eq_f64_e64 s2, 0, v[4:5]
	s_and_b32 s6, vcc_lo, s2
	s_mov_b32 s2, -1
	s_and_saveexec_b32 s3, s6
	s_cbranch_execz .LBB26_2
; %bb.1:
	s_wait_loadcnt_dscnt 0x0
	v_cmp_neq_f64_e32 vcc_lo, 1.0, v[6:7]
	v_cmp_neq_f64_e64 s2, 0, v[8:9]
	s_or_b32 s2, vcc_lo, s2
	s_delay_alu instid0(SALU_CYCLE_1)
	s_or_not1_b32 s2, s2, exec_lo
.LBB26_2:
	s_or_b32 exec_lo, exec_lo, s3
	s_and_saveexec_b32 s3, s2
	s_cbranch_execz .LBB26_33
; %bb.3:
	s_load_b64 s[2:3], s[0:1], 0x18
	s_bfe_u32 s6, ttmp6, 0x4000c
	s_and_b32 s7, ttmp6, 15
	s_add_co_i32 s6, s6, 1
	s_getreg_b32 s9, hwreg(HW_REG_IB_STS2, 6, 4)
	s_mul_i32 s6, ttmp9, s6
	v_lshrrev_b32_e32 v20, 3, v0
	s_add_co_i32 s7, s7, s6
	s_cmp_eq_u32 s9, 0
	s_cselect_b32 s6, ttmp9, s7
	s_delay_alu instid0(VALU_DEP_1) | instid1(SALU_CYCLE_1)
	v_lshl_or_b32 v14, s6, 6, v20
	s_wait_kmcnt 0x0
	s_delay_alu instid0(VALU_DEP_1)
	v_cmp_gt_i32_e32 vcc_lo, s3, v14
	s_and_b32 exec_lo, exec_lo, vcc_lo
	s_cbranch_execz .LBB26_33
; %bb.4:
	s_load_b64 s[6:7], s[0:1], 0x68
	s_mov_b32 s13, -1
	s_wait_kmcnt 0x0
	global_load_b32 v1, v14, s[6:7] scale_offset
	s_wait_loadcnt 0x0
	v_subrev_nc_u32_e32 v10, s8, v1
	s_delay_alu instid0(VALU_DEP_1)
	v_cmp_lt_i32_e32 vcc_lo, -1, v10
	s_and_b32 exec_lo, exec_lo, vcc_lo
	s_cbranch_execz .LBB26_33
; %bb.5:
	s_clause 0x1
	s_load_b128 s[8:11], s[0:1], 0x0
	s_load_b32 s6, s[0:1], 0x10
                                        ; implicit-def: $vgpr16_vgpr17
	v_ashrrev_i32_e32 v15, 31, v14
	s_wait_kmcnt 0x0
	s_cmp_eq_u32 s10, 1
	s_cselect_b32 s3, -1, 0
	s_cmp_eq_u32 s8, 0x6f
	s_cselect_b32 s12, -1, 0
	s_cmp_lg_u32 s8, 0x6f
	s_cselect_b32 s8, -1, 0
	s_abs_i32 s14, s6
	s_delay_alu instid0(SALU_CYCLE_1) | instskip(SKIP_1) | instid1(SALU_CYCLE_2)
	s_cvt_f32_u32 s6, s14
	s_sub_co_i32 s7, 0, s14
	v_rcp_iflag_f32_e32 v1, s6
	v_nop
	s_delay_alu instid0(TRANS32_DEP_1) | instskip(SKIP_2) | instid1(VALU_DEP_1)
	v_readfirstlane_b32 s6, v1
	v_sub_nc_u32_e32 v1, 0, v14
	s_mul_f32 s6, s6, 0x4f7ffffe
	v_max_i32_e32 v1, v14, v1
	s_delay_alu instid0(SALU_CYCLE_2) | instskip(NEXT) | instid1(SALU_CYCLE_3)
	s_cvt_u32_f32 s6, s6
	s_mul_i32 s7, s7, s6
	s_delay_alu instid0(SALU_CYCLE_1) | instskip(NEXT) | instid1(SALU_CYCLE_1)
	s_mul_hi_u32 s7, s6, s7
	s_add_co_i32 s6, s6, s7
	s_cmp_lg_u32 s10, 1
	v_mul_hi_u32 v11, v1, s6
	s_load_b64 s[6:7], s[0:1], 0x38
	s_delay_alu instid0(VALU_DEP_1) | instskip(NEXT) | instid1(VALU_DEP_1)
	v_mul_lo_u32 v11, v11, s14
	v_sub_nc_u32_e32 v1, v1, v11
	s_delay_alu instid0(VALU_DEP_1) | instskip(SKIP_1) | instid1(VALU_DEP_2)
	v_subrev_nc_u32_e32 v11, s14, v1
	v_cmp_le_u32_e32 vcc_lo, s14, v1
	v_cndmask_b32_e32 v1, v1, v11, vcc_lo
	s_delay_alu instid0(VALU_DEP_1) | instskip(SKIP_1) | instid1(VALU_DEP_2)
	v_subrev_nc_u32_e32 v11, s14, v1
	v_cmp_le_u32_e32 vcc_lo, s14, v1
	v_cndmask_b32_e32 v1, v1, v11, vcc_lo
	s_delay_alu instid0(VALU_DEP_1) | instskip(NEXT) | instid1(VALU_DEP_1)
	v_xor_b32_e32 v1, v1, v15
	v_sub_nc_u32_e32 v12, v1, v15
	s_delay_alu instid0(VALU_DEP_1)
	v_ashrrev_i32_e32 v13, 31, v12
	s_cbranch_scc0 .LBB26_9
; %bb.6:
	s_delay_alu instid0(VALU_DEP_1)
	v_mov_b64_e32 v[16:17], v[12:13]
	s_and_not1_b32 vcc_lo, exec_lo, s12
	s_cbranch_vccnz .LBB26_8
; %bb.7:
	s_wait_kmcnt 0x0
	v_mul_u64_e32 v[16:17], s[6:7], v[12:13]
.LBB26_8:
	s_mov_b32 s13, 0
.LBB26_9:
	s_delay_alu instid0(SALU_CYCLE_1)
	s_and_not1_b32 vcc_lo, exec_lo, s13
	s_cbranch_vccnz .LBB26_13
; %bb.10:
	s_and_not1_b32 vcc_lo, exec_lo, s8
	s_cbranch_vccnz .LBB26_12
; %bb.11:
	s_wait_kmcnt 0x0
	v_mul_u64_e32 v[12:13], s[6:7], v[12:13]
.LBB26_12:
	s_delay_alu instid0(VALU_DEP_1)
	v_mov_b64_e32 v[16:17], v[12:13]
.LBB26_13:
	s_cmp_eq_u32 s11, 1
	v_mov_b32_e32 v11, 0
	s_cselect_b32 s10, -1, 0
	s_cmp_eq_u32 s9, 0x6f
	s_cselect_b32 s13, -1, 0
	s_cmp_lg_u32 s9, 0x6f
	s_cselect_b32 s8, -1, 0
	s_cmp_lg_u32 s11, 1
	s_cbranch_scc0 .LBB26_17
; %bb.14:
	v_mov_b64_e32 v[18:19], v[10:11]
	s_and_not1_b32 vcc_lo, exec_lo, s8
	s_cbranch_vccnz .LBB26_16
; %bb.15:
	v_mul_u64_e32 v[18:19], s[4:5], v[10:11]
.LBB26_16:
	s_cbranch_execz .LBB26_18
	s_branch .LBB26_21
.LBB26_17:
                                        ; implicit-def: $vgpr18_vgpr19
.LBB26_18:
	s_and_not1_b32 vcc_lo, exec_lo, s13
	s_cbranch_vccnz .LBB26_20
; %bb.19:
	v_mul_u64_e32 v[10:11], s[4:5], v[10:11]
.LBB26_20:
	s_delay_alu instid0(VALU_DEP_1)
	v_mov_b64_e32 v[18:19], v[10:11]
.LBB26_21:
	v_mov_b64_e32 v[12:13], 0
	v_mov_b64_e32 v[10:11], 0
	v_and_b32_e32 v21, 7, v0
	s_mov_b32 s8, exec_lo
	s_delay_alu instid0(VALU_DEP_1)
	v_cmpx_gt_i32_e64 s2, v21
	s_cbranch_execz .LBB26_25
; %bb.22:
	s_xor_b32 s3, s12, s3
	v_dual_mov_b32 v1, 0 :: v_dual_bitop2_b32 v0, 7, v0 bitop3:0x40
	s_and_b32 s3, s3, exec_lo
	s_wait_kmcnt 0x0
	s_cselect_b32 s7, 0, s7
	s_cselect_b32 s6, 1, s6
	s_xor_b32 s3, s13, s10
	s_clause 0x1
	s_load_b64 s[10:11], s[0:1], 0x40
	s_load_b64 s[12:13], s[0:1], 0x30
	s_and_b32 s3, s3, exec_lo
	s_cselect_b32 s5, s5, 0
	s_cselect_b32 s4, s4, 1
	v_lshlrev_b64_e32 v[12:13], 4, v[18:19]
	v_mul_u64_e32 v[10:11], s[4:5], v[0:1]
	v_mul_u64_e32 v[0:1], s[6:7], v[0:1]
	v_lshlrev_b64_e32 v[16:17], 4, v[16:17]
	v_mov_b32_e32 v18, v21
	s_mov_b32 s3, 0
	s_lshl_b64 s[4:5], s[4:5], 7
	s_lshl_b64 s[6:7], s[6:7], 7
	s_delay_alu instid0(VALU_DEP_4) | instskip(NEXT) | instid1(VALU_DEP_3)
	v_lshl_add_u64 v[10:11], v[10:11], 4, v[12:13]
	v_lshl_add_u64 v[0:1], v[0:1], 4, v[16:17]
	v_mov_b64_e32 v[12:13], 0
	s_wait_kmcnt 0x0
	s_delay_alu instid0(VALU_DEP_3) | instskip(NEXT) | instid1(VALU_DEP_3)
	v_add_nc_u64_e32 v[10:11], s[10:11], v[10:11]
	v_add_nc_u64_e32 v[16:17], s[12:13], v[0:1]
	s_delay_alu instid0(VALU_DEP_2) | instskip(NEXT) | instid1(VALU_DEP_2)
	v_add_nc_u64_e32 v[0:1], 8, v[10:11]
	v_add_nc_u64_e32 v[16:17], 8, v[16:17]
	v_mov_b64_e32 v[10:11], v[12:13]
.LBB26_23:                              ; =>This Inner Loop Header: Depth=1
	global_load_b128 v[22:25], v[0:1], off offset:-8
	global_load_b128 v[26:29], v[16:17], off offset:-8
	s_wait_xcnt 0x1
	v_add_nc_u64_e32 v[0:1], s[4:5], v[0:1]
	s_wait_xcnt 0x0
	v_add_nc_u64_e32 v[16:17], s[6:7], v[16:17]
	v_add_nc_u32_e32 v18, 8, v18
	s_delay_alu instid0(VALU_DEP_1) | instskip(SKIP_4) | instid1(VALU_DEP_2)
	v_cmp_le_i32_e32 vcc_lo, s2, v18
	s_or_b32 s3, vcc_lo, s3
	s_wait_loadcnt 0x0
	v_mul_f64_e64 v[30:31], v[24:25], -v[28:29]
	v_mul_f64_e32 v[24:25], v[24:25], v[26:27]
	v_fmac_f64_e32 v[30:31], v[26:27], v[22:23]
	s_delay_alu instid0(VALU_DEP_2) | instskip(NEXT) | instid1(VALU_DEP_2)
	v_fmac_f64_e32 v[24:25], v[28:29], v[22:23]
	v_add_f64_e32 v[10:11], v[10:11], v[30:31]
	s_delay_alu instid0(VALU_DEP_2)
	v_add_f64_e32 v[12:13], v[12:13], v[24:25]
	s_and_not1_b32 exec_lo, exec_lo, s3
	s_cbranch_execnz .LBB26_23
; %bb.24:
	s_or_b32 exec_lo, exec_lo, s3
.LBB26_25:
	s_delay_alu instid0(SALU_CYCLE_1) | instskip(SKIP_4) | instid1(VALU_DEP_1)
	s_or_b32 exec_lo, exec_lo, s8
	s_wait_xcnt 0x0
	s_load_b64 s[0:1], s[0:1], 0x60
	v_lshlrev_b32_e32 v0, 7, v20
	s_mov_b32 s2, exec_lo
	v_lshl_or_b32 v1, v21, 4, v0
	ds_store_b128 v1, v[10:13]
	s_wait_dscnt 0x0
	s_barrier_signal -1
	s_barrier_wait -1
	v_cmpx_gt_u32_e32 4, v21
	s_cbranch_execz .LBB26_27
; %bb.26:
	ds_load_b128 v[10:13], v1 offset:64
	ds_load_b128 v[16:19], v1
	s_wait_dscnt 0x0
	v_add_f64_e32 v[10:11], v[10:11], v[16:17]
	v_add_f64_e32 v[12:13], v[12:13], v[18:19]
	ds_store_b128 v1, v[10:13]
.LBB26_27:
	s_or_b32 exec_lo, exec_lo, s2
	s_delay_alu instid0(SALU_CYCLE_1)
	s_mov_b32 s2, exec_lo
	s_wait_dscnt 0x0
	s_barrier_signal -1
	s_barrier_wait -1
	v_cmpx_gt_u32_e32 2, v21
	s_cbranch_execz .LBB26_29
; %bb.28:
	ds_load_b128 v[10:13], v1
	ds_load_b128 v[16:19], v1 offset:32
	s_wait_dscnt 0x0
	v_add_f64_e32 v[10:11], v[16:17], v[10:11]
	v_add_f64_e32 v[12:13], v[18:19], v[12:13]
	ds_store_b128 v1, v[10:13]
.LBB26_29:
	s_or_b32 exec_lo, exec_lo, s2
	v_cmp_eq_u32_e32 vcc_lo, 0, v21
	s_wait_dscnt 0x0
	s_barrier_signal -1
	s_barrier_wait -1
	s_and_saveexec_b32 s2, vcc_lo
	s_cbranch_execz .LBB26_31
; %bb.30:
	ds_load_b128 v[10:13], v1
	ds_load_b128 v[16:19], v1 offset:16
	s_wait_dscnt 0x0
	v_add_f64_e32 v[10:11], v[16:17], v[10:11]
	v_add_f64_e32 v[12:13], v[18:19], v[12:13]
	ds_store_b128 v1, v[10:13]
.LBB26_31:
	s_or_b32 exec_lo, exec_lo, s2
	s_wait_dscnt 0x0
	s_barrier_signal -1
	s_barrier_wait -1
	s_and_b32 exec_lo, exec_lo, vcc_lo
	s_cbranch_execz .LBB26_33
; %bb.32:
	s_wait_kmcnt 0x0
	v_lshl_add_u64 v[18:19], v[14:15], 4, s[0:1]
	ds_load_b128 v[14:17], v0
	global_load_b128 v[10:13], v[18:19], off
	s_wait_dscnt 0x0
	v_mul_f64_e64 v[0:1], v[16:17], -v[4:5]
	v_mul_f64_e32 v[16:17], v[2:3], v[16:17]
	s_delay_alu instid0(VALU_DEP_2) | instskip(NEXT) | instid1(VALU_DEP_2)
	v_fmac_f64_e32 v[0:1], v[2:3], v[14:15]
	v_fmac_f64_e32 v[16:17], v[4:5], v[14:15]
	s_wait_loadcnt 0x0
	v_mul_f64_e64 v[20:21], v[8:9], -v[12:13]
	v_mul_f64_e32 v[8:9], v[8:9], v[10:11]
	s_delay_alu instid0(VALU_DEP_2) | instskip(NEXT) | instid1(VALU_DEP_2)
	v_fmac_f64_e32 v[20:21], v[10:11], v[6:7]
	v_fmac_f64_e32 v[8:9], v[12:13], v[6:7]
	s_delay_alu instid0(VALU_DEP_2) | instskip(NEXT) | instid1(VALU_DEP_2)
	v_add_f64_e32 v[0:1], v[20:21], v[0:1]
	v_add_f64_e32 v[2:3], v[8:9], v[16:17]
	global_store_b128 v[18:19], v[0:3], off
.LBB26_33:
	s_endpgm
	.section	.rodata,"a",@progbits
	.p2align	6, 0x0
	.amdhsa_kernel _ZN9rocsparseL16sddmm_ell_kernelILi512ELi8E21rocsparse_complex_numIdEiiS2_S2_S2_EEv20rocsparse_operation_S3_16rocsparse_order_S4_T3_S5_S5_T2_NS_24const_host_device_scalarIT1_EEPKT4_lPKT5_lS9_PT6_PKS5_21rocsparse_index_base_b
		.amdhsa_group_segment_fixed_size 8192
		.amdhsa_private_segment_fixed_size 0
		.amdhsa_kernarg_size 120
		.amdhsa_user_sgpr_count 2
		.amdhsa_user_sgpr_dispatch_ptr 0
		.amdhsa_user_sgpr_queue_ptr 0
		.amdhsa_user_sgpr_kernarg_segment_ptr 1
		.amdhsa_user_sgpr_dispatch_id 0
		.amdhsa_user_sgpr_kernarg_preload_length 0
		.amdhsa_user_sgpr_kernarg_preload_offset 0
		.amdhsa_user_sgpr_private_segment_size 0
		.amdhsa_wavefront_size32 1
		.amdhsa_uses_dynamic_stack 0
		.amdhsa_enable_private_segment 0
		.amdhsa_system_sgpr_workgroup_id_x 1
		.amdhsa_system_sgpr_workgroup_id_y 0
		.amdhsa_system_sgpr_workgroup_id_z 0
		.amdhsa_system_sgpr_workgroup_info 0
		.amdhsa_system_vgpr_workitem_id 0
		.amdhsa_next_free_vgpr 32
		.amdhsa_next_free_sgpr 15
		.amdhsa_named_barrier_count 0
		.amdhsa_reserve_vcc 1
		.amdhsa_float_round_mode_32 0
		.amdhsa_float_round_mode_16_64 0
		.amdhsa_float_denorm_mode_32 3
		.amdhsa_float_denorm_mode_16_64 3
		.amdhsa_fp16_overflow 0
		.amdhsa_memory_ordered 1
		.amdhsa_forward_progress 1
		.amdhsa_inst_pref_size 11
		.amdhsa_round_robin_scheduling 0
		.amdhsa_exception_fp_ieee_invalid_op 0
		.amdhsa_exception_fp_denorm_src 0
		.amdhsa_exception_fp_ieee_div_zero 0
		.amdhsa_exception_fp_ieee_overflow 0
		.amdhsa_exception_fp_ieee_underflow 0
		.amdhsa_exception_fp_ieee_inexact 0
		.amdhsa_exception_int_div_zero 0
	.end_amdhsa_kernel
	.section	.text._ZN9rocsparseL16sddmm_ell_kernelILi512ELi8E21rocsparse_complex_numIdEiiS2_S2_S2_EEv20rocsparse_operation_S3_16rocsparse_order_S4_T3_S5_S5_T2_NS_24const_host_device_scalarIT1_EEPKT4_lPKT5_lS9_PT6_PKS5_21rocsparse_index_base_b,"axG",@progbits,_ZN9rocsparseL16sddmm_ell_kernelILi512ELi8E21rocsparse_complex_numIdEiiS2_S2_S2_EEv20rocsparse_operation_S3_16rocsparse_order_S4_T3_S5_S5_T2_NS_24const_host_device_scalarIT1_EEPKT4_lPKT5_lS9_PT6_PKS5_21rocsparse_index_base_b,comdat
.Lfunc_end26:
	.size	_ZN9rocsparseL16sddmm_ell_kernelILi512ELi8E21rocsparse_complex_numIdEiiS2_S2_S2_EEv20rocsparse_operation_S3_16rocsparse_order_S4_T3_S5_S5_T2_NS_24const_host_device_scalarIT1_EEPKT4_lPKT5_lS9_PT6_PKS5_21rocsparse_index_base_b, .Lfunc_end26-_ZN9rocsparseL16sddmm_ell_kernelILi512ELi8E21rocsparse_complex_numIdEiiS2_S2_S2_EEv20rocsparse_operation_S3_16rocsparse_order_S4_T3_S5_S5_T2_NS_24const_host_device_scalarIT1_EEPKT4_lPKT5_lS9_PT6_PKS5_21rocsparse_index_base_b
                                        ; -- End function
	.set _ZN9rocsparseL16sddmm_ell_kernelILi512ELi8E21rocsparse_complex_numIdEiiS2_S2_S2_EEv20rocsparse_operation_S3_16rocsparse_order_S4_T3_S5_S5_T2_NS_24const_host_device_scalarIT1_EEPKT4_lPKT5_lS9_PT6_PKS5_21rocsparse_index_base_b.num_vgpr, 32
	.set _ZN9rocsparseL16sddmm_ell_kernelILi512ELi8E21rocsparse_complex_numIdEiiS2_S2_S2_EEv20rocsparse_operation_S3_16rocsparse_order_S4_T3_S5_S5_T2_NS_24const_host_device_scalarIT1_EEPKT4_lPKT5_lS9_PT6_PKS5_21rocsparse_index_base_b.num_agpr, 0
	.set _ZN9rocsparseL16sddmm_ell_kernelILi512ELi8E21rocsparse_complex_numIdEiiS2_S2_S2_EEv20rocsparse_operation_S3_16rocsparse_order_S4_T3_S5_S5_T2_NS_24const_host_device_scalarIT1_EEPKT4_lPKT5_lS9_PT6_PKS5_21rocsparse_index_base_b.numbered_sgpr, 15
	.set _ZN9rocsparseL16sddmm_ell_kernelILi512ELi8E21rocsparse_complex_numIdEiiS2_S2_S2_EEv20rocsparse_operation_S3_16rocsparse_order_S4_T3_S5_S5_T2_NS_24const_host_device_scalarIT1_EEPKT4_lPKT5_lS9_PT6_PKS5_21rocsparse_index_base_b.num_named_barrier, 0
	.set _ZN9rocsparseL16sddmm_ell_kernelILi512ELi8E21rocsparse_complex_numIdEiiS2_S2_S2_EEv20rocsparse_operation_S3_16rocsparse_order_S4_T3_S5_S5_T2_NS_24const_host_device_scalarIT1_EEPKT4_lPKT5_lS9_PT6_PKS5_21rocsparse_index_base_b.private_seg_size, 0
	.set _ZN9rocsparseL16sddmm_ell_kernelILi512ELi8E21rocsparse_complex_numIdEiiS2_S2_S2_EEv20rocsparse_operation_S3_16rocsparse_order_S4_T3_S5_S5_T2_NS_24const_host_device_scalarIT1_EEPKT4_lPKT5_lS9_PT6_PKS5_21rocsparse_index_base_b.uses_vcc, 1
	.set _ZN9rocsparseL16sddmm_ell_kernelILi512ELi8E21rocsparse_complex_numIdEiiS2_S2_S2_EEv20rocsparse_operation_S3_16rocsparse_order_S4_T3_S5_S5_T2_NS_24const_host_device_scalarIT1_EEPKT4_lPKT5_lS9_PT6_PKS5_21rocsparse_index_base_b.uses_flat_scratch, 0
	.set _ZN9rocsparseL16sddmm_ell_kernelILi512ELi8E21rocsparse_complex_numIdEiiS2_S2_S2_EEv20rocsparse_operation_S3_16rocsparse_order_S4_T3_S5_S5_T2_NS_24const_host_device_scalarIT1_EEPKT4_lPKT5_lS9_PT6_PKS5_21rocsparse_index_base_b.has_dyn_sized_stack, 0
	.set _ZN9rocsparseL16sddmm_ell_kernelILi512ELi8E21rocsparse_complex_numIdEiiS2_S2_S2_EEv20rocsparse_operation_S3_16rocsparse_order_S4_T3_S5_S5_T2_NS_24const_host_device_scalarIT1_EEPKT4_lPKT5_lS9_PT6_PKS5_21rocsparse_index_base_b.has_recursion, 0
	.set _ZN9rocsparseL16sddmm_ell_kernelILi512ELi8E21rocsparse_complex_numIdEiiS2_S2_S2_EEv20rocsparse_operation_S3_16rocsparse_order_S4_T3_S5_S5_T2_NS_24const_host_device_scalarIT1_EEPKT4_lPKT5_lS9_PT6_PKS5_21rocsparse_index_base_b.has_indirect_call, 0
	.section	.AMDGPU.csdata,"",@progbits
; Kernel info:
; codeLenInByte = 1352
; TotalNumSgprs: 17
; NumVgprs: 32
; ScratchSize: 0
; MemoryBound: 0
; FloatMode: 240
; IeeeMode: 1
; LDSByteSize: 8192 bytes/workgroup (compile time only)
; SGPRBlocks: 0
; VGPRBlocks: 1
; NumSGPRsForWavesPerEU: 17
; NumVGPRsForWavesPerEU: 32
; NamedBarCnt: 0
; Occupancy: 16
; WaveLimiterHint : 0
; COMPUTE_PGM_RSRC2:SCRATCH_EN: 0
; COMPUTE_PGM_RSRC2:USER_SGPR: 2
; COMPUTE_PGM_RSRC2:TRAP_HANDLER: 0
; COMPUTE_PGM_RSRC2:TGID_X_EN: 1
; COMPUTE_PGM_RSRC2:TGID_Y_EN: 0
; COMPUTE_PGM_RSRC2:TGID_Z_EN: 0
; COMPUTE_PGM_RSRC2:TIDIG_COMP_CNT: 0
	.section	.text._ZN9rocsparseL16sddmm_ell_kernelILi512ELi4E21rocsparse_complex_numIdEiiS2_S2_S2_EEv20rocsparse_operation_S3_16rocsparse_order_S4_T3_S5_S5_T2_NS_24const_host_device_scalarIT1_EEPKT4_lPKT5_lS9_PT6_PKS5_21rocsparse_index_base_b,"axG",@progbits,_ZN9rocsparseL16sddmm_ell_kernelILi512ELi4E21rocsparse_complex_numIdEiiS2_S2_S2_EEv20rocsparse_operation_S3_16rocsparse_order_S4_T3_S5_S5_T2_NS_24const_host_device_scalarIT1_EEPKT4_lPKT5_lS9_PT6_PKS5_21rocsparse_index_base_b,comdat
	.globl	_ZN9rocsparseL16sddmm_ell_kernelILi512ELi4E21rocsparse_complex_numIdEiiS2_S2_S2_EEv20rocsparse_operation_S3_16rocsparse_order_S4_T3_S5_S5_T2_NS_24const_host_device_scalarIT1_EEPKT4_lPKT5_lS9_PT6_PKS5_21rocsparse_index_base_b ; -- Begin function _ZN9rocsparseL16sddmm_ell_kernelILi512ELi4E21rocsparse_complex_numIdEiiS2_S2_S2_EEv20rocsparse_operation_S3_16rocsparse_order_S4_T3_S5_S5_T2_NS_24const_host_device_scalarIT1_EEPKT4_lPKT5_lS9_PT6_PKS5_21rocsparse_index_base_b
	.p2align	8
	.type	_ZN9rocsparseL16sddmm_ell_kernelILi512ELi4E21rocsparse_complex_numIdEiiS2_S2_S2_EEv20rocsparse_operation_S3_16rocsparse_order_S4_T3_S5_S5_T2_NS_24const_host_device_scalarIT1_EEPKT4_lPKT5_lS9_PT6_PKS5_21rocsparse_index_base_b,@function
_ZN9rocsparseL16sddmm_ell_kernelILi512ELi4E21rocsparse_complex_numIdEiiS2_S2_S2_EEv20rocsparse_operation_S3_16rocsparse_order_S4_T3_S5_S5_T2_NS_24const_host_device_scalarIT1_EEPKT4_lPKT5_lS9_PT6_PKS5_21rocsparse_index_base_b: ; @_ZN9rocsparseL16sddmm_ell_kernelILi512ELi4E21rocsparse_complex_numIdEiiS2_S2_S2_EEv20rocsparse_operation_S3_16rocsparse_order_S4_T3_S5_S5_T2_NS_24const_host_device_scalarIT1_EEPKT4_lPKT5_lS9_PT6_PKS5_21rocsparse_index_base_b
; %bb.0:
	s_clause 0x1
	s_load_b64 s[8:9], s[0:1], 0x70
	s_load_b64 s[2:3], s[0:1], 0x20
	v_mov_b32_e32 v1, 0
	s_add_nc_u64 s[10:11], s[0:1], 32
	s_load_b128 s[4:7], s[0:1], 0x48
	s_wait_kmcnt 0x0
	s_bitcmp1_b32 s9, 0
	s_cselect_b32 s3, s11, s3
	s_cselect_b32 s2, s10, s2
	flat_load_b128 v[2:5], v1, s[2:3]
	s_wait_xcnt 0x0
	s_add_nc_u64 s[2:3], s[0:1], 0x50
	s_delay_alu instid0(SALU_CYCLE_1)
	s_cselect_b32 s3, s3, s7
	s_cselect_b32 s2, s2, s6
	flat_load_b128 v[6:9], v1, s[2:3]
	s_wait_loadcnt_dscnt 0x101
	v_cmp_eq_f64_e32 vcc_lo, 0, v[2:3]
	s_wait_xcnt 0x0
	v_cmp_eq_f64_e64 s2, 0, v[4:5]
	s_and_b32 s6, vcc_lo, s2
	s_mov_b32 s2, -1
	s_and_saveexec_b32 s3, s6
	s_cbranch_execz .LBB27_2
; %bb.1:
	s_wait_loadcnt_dscnt 0x0
	v_cmp_neq_f64_e32 vcc_lo, 1.0, v[6:7]
	v_cmp_neq_f64_e64 s2, 0, v[8:9]
	s_or_b32 s2, vcc_lo, s2
	s_delay_alu instid0(SALU_CYCLE_1)
	s_or_not1_b32 s2, s2, exec_lo
.LBB27_2:
	s_or_b32 exec_lo, exec_lo, s3
	s_and_saveexec_b32 s3, s2
	s_cbranch_execz .LBB27_31
; %bb.3:
	s_load_b64 s[2:3], s[0:1], 0x18
	s_bfe_u32 s6, ttmp6, 0x4000c
	s_and_b32 s7, ttmp6, 15
	s_add_co_i32 s6, s6, 1
	s_getreg_b32 s9, hwreg(HW_REG_IB_STS2, 6, 4)
	s_mul_i32 s6, ttmp9, s6
	v_lshrrev_b32_e32 v20, 2, v0
	s_add_co_i32 s7, s7, s6
	s_cmp_eq_u32 s9, 0
	s_cselect_b32 s6, ttmp9, s7
	s_delay_alu instid0(VALU_DEP_1) | instid1(SALU_CYCLE_1)
	v_lshl_or_b32 v14, s6, 7, v20
	s_wait_kmcnt 0x0
	s_delay_alu instid0(VALU_DEP_1)
	v_cmp_gt_i32_e32 vcc_lo, s3, v14
	s_and_b32 exec_lo, exec_lo, vcc_lo
	s_cbranch_execz .LBB27_31
; %bb.4:
	s_load_b64 s[6:7], s[0:1], 0x68
	s_mov_b32 s13, -1
	s_wait_kmcnt 0x0
	global_load_b32 v1, v14, s[6:7] scale_offset
	s_wait_loadcnt 0x0
	v_subrev_nc_u32_e32 v10, s8, v1
	s_delay_alu instid0(VALU_DEP_1)
	v_cmp_lt_i32_e32 vcc_lo, -1, v10
	s_and_b32 exec_lo, exec_lo, vcc_lo
	s_cbranch_execz .LBB27_31
; %bb.5:
	s_clause 0x1
	s_load_b128 s[8:11], s[0:1], 0x0
	s_load_b32 s6, s[0:1], 0x10
                                        ; implicit-def: $vgpr16_vgpr17
	v_ashrrev_i32_e32 v15, 31, v14
	s_wait_kmcnt 0x0
	s_cmp_eq_u32 s10, 1
	s_cselect_b32 s3, -1, 0
	s_cmp_eq_u32 s8, 0x6f
	s_cselect_b32 s12, -1, 0
	s_cmp_lg_u32 s8, 0x6f
	s_cselect_b32 s8, -1, 0
	s_abs_i32 s14, s6
	s_delay_alu instid0(SALU_CYCLE_1) | instskip(SKIP_1) | instid1(SALU_CYCLE_2)
	s_cvt_f32_u32 s6, s14
	s_sub_co_i32 s7, 0, s14
	v_rcp_iflag_f32_e32 v1, s6
	v_nop
	s_delay_alu instid0(TRANS32_DEP_1) | instskip(SKIP_2) | instid1(VALU_DEP_1)
	v_readfirstlane_b32 s6, v1
	v_sub_nc_u32_e32 v1, 0, v14
	s_mul_f32 s6, s6, 0x4f7ffffe
	v_max_i32_e32 v1, v14, v1
	s_delay_alu instid0(SALU_CYCLE_2) | instskip(NEXT) | instid1(SALU_CYCLE_3)
	s_cvt_u32_f32 s6, s6
	s_mul_i32 s7, s7, s6
	s_delay_alu instid0(SALU_CYCLE_1) | instskip(NEXT) | instid1(SALU_CYCLE_1)
	s_mul_hi_u32 s7, s6, s7
	s_add_co_i32 s6, s6, s7
	s_cmp_lg_u32 s10, 1
	v_mul_hi_u32 v11, v1, s6
	s_load_b64 s[6:7], s[0:1], 0x38
	s_delay_alu instid0(VALU_DEP_1) | instskip(NEXT) | instid1(VALU_DEP_1)
	v_mul_lo_u32 v11, v11, s14
	v_sub_nc_u32_e32 v1, v1, v11
	s_delay_alu instid0(VALU_DEP_1) | instskip(SKIP_1) | instid1(VALU_DEP_2)
	v_subrev_nc_u32_e32 v11, s14, v1
	v_cmp_le_u32_e32 vcc_lo, s14, v1
	v_cndmask_b32_e32 v1, v1, v11, vcc_lo
	s_delay_alu instid0(VALU_DEP_1) | instskip(SKIP_1) | instid1(VALU_DEP_2)
	v_subrev_nc_u32_e32 v11, s14, v1
	v_cmp_le_u32_e32 vcc_lo, s14, v1
	v_cndmask_b32_e32 v1, v1, v11, vcc_lo
	s_delay_alu instid0(VALU_DEP_1) | instskip(NEXT) | instid1(VALU_DEP_1)
	v_xor_b32_e32 v1, v1, v15
	v_sub_nc_u32_e32 v12, v1, v15
	s_delay_alu instid0(VALU_DEP_1)
	v_ashrrev_i32_e32 v13, 31, v12
	s_cbranch_scc0 .LBB27_9
; %bb.6:
	s_delay_alu instid0(VALU_DEP_1)
	v_mov_b64_e32 v[16:17], v[12:13]
	s_and_not1_b32 vcc_lo, exec_lo, s12
	s_cbranch_vccnz .LBB27_8
; %bb.7:
	s_wait_kmcnt 0x0
	v_mul_u64_e32 v[16:17], s[6:7], v[12:13]
.LBB27_8:
	s_mov_b32 s13, 0
.LBB27_9:
	s_delay_alu instid0(SALU_CYCLE_1)
	s_and_not1_b32 vcc_lo, exec_lo, s13
	s_cbranch_vccnz .LBB27_13
; %bb.10:
	s_and_not1_b32 vcc_lo, exec_lo, s8
	s_cbranch_vccnz .LBB27_12
; %bb.11:
	s_wait_kmcnt 0x0
	v_mul_u64_e32 v[12:13], s[6:7], v[12:13]
.LBB27_12:
	s_delay_alu instid0(VALU_DEP_1)
	v_mov_b64_e32 v[16:17], v[12:13]
.LBB27_13:
	s_cmp_eq_u32 s11, 1
	v_mov_b32_e32 v11, 0
	s_cselect_b32 s10, -1, 0
	s_cmp_eq_u32 s9, 0x6f
	s_cselect_b32 s13, -1, 0
	s_cmp_lg_u32 s9, 0x6f
	s_cselect_b32 s8, -1, 0
	s_cmp_lg_u32 s11, 1
	s_cbranch_scc0 .LBB27_17
; %bb.14:
	v_mov_b64_e32 v[18:19], v[10:11]
	s_and_not1_b32 vcc_lo, exec_lo, s8
	s_cbranch_vccnz .LBB27_16
; %bb.15:
	v_mul_u64_e32 v[18:19], s[4:5], v[10:11]
.LBB27_16:
	s_cbranch_execz .LBB27_18
	s_branch .LBB27_21
.LBB27_17:
                                        ; implicit-def: $vgpr18_vgpr19
.LBB27_18:
	s_and_not1_b32 vcc_lo, exec_lo, s13
	s_cbranch_vccnz .LBB27_20
; %bb.19:
	v_mul_u64_e32 v[10:11], s[4:5], v[10:11]
.LBB27_20:
	s_delay_alu instid0(VALU_DEP_1)
	v_mov_b64_e32 v[18:19], v[10:11]
.LBB27_21:
	v_mov_b64_e32 v[12:13], 0
	v_mov_b64_e32 v[10:11], 0
	v_and_b32_e32 v21, 3, v0
	s_mov_b32 s8, exec_lo
	s_delay_alu instid0(VALU_DEP_1)
	v_cmpx_gt_i32_e64 s2, v21
	s_cbranch_execz .LBB27_25
; %bb.22:
	s_xor_b32 s3, s12, s3
	v_dual_mov_b32 v1, 0 :: v_dual_bitop2_b32 v0, 3, v0 bitop3:0x40
	s_and_b32 s3, s3, exec_lo
	s_wait_kmcnt 0x0
	s_cselect_b32 s7, 0, s7
	s_cselect_b32 s6, 1, s6
	s_xor_b32 s3, s13, s10
	s_clause 0x1
	s_load_b64 s[10:11], s[0:1], 0x40
	s_load_b64 s[12:13], s[0:1], 0x30
	s_and_b32 s3, s3, exec_lo
	s_cselect_b32 s5, s5, 0
	s_cselect_b32 s4, s4, 1
	v_lshlrev_b64_e32 v[12:13], 4, v[18:19]
	v_mul_u64_e32 v[10:11], s[4:5], v[0:1]
	v_mul_u64_e32 v[0:1], s[6:7], v[0:1]
	v_lshlrev_b64_e32 v[16:17], 4, v[16:17]
	v_mov_b32_e32 v18, v21
	s_mov_b32 s3, 0
	s_lshl_b64 s[4:5], s[4:5], 6
	s_lshl_b64 s[6:7], s[6:7], 6
	s_delay_alu instid0(VALU_DEP_4) | instskip(NEXT) | instid1(VALU_DEP_3)
	v_lshl_add_u64 v[10:11], v[10:11], 4, v[12:13]
	v_lshl_add_u64 v[0:1], v[0:1], 4, v[16:17]
	v_mov_b64_e32 v[12:13], 0
	s_wait_kmcnt 0x0
	s_delay_alu instid0(VALU_DEP_3) | instskip(NEXT) | instid1(VALU_DEP_3)
	v_add_nc_u64_e32 v[10:11], s[10:11], v[10:11]
	v_add_nc_u64_e32 v[16:17], s[12:13], v[0:1]
	s_delay_alu instid0(VALU_DEP_2) | instskip(NEXT) | instid1(VALU_DEP_2)
	v_add_nc_u64_e32 v[0:1], 8, v[10:11]
	v_add_nc_u64_e32 v[16:17], 8, v[16:17]
	v_mov_b64_e32 v[10:11], v[12:13]
.LBB27_23:                              ; =>This Inner Loop Header: Depth=1
	global_load_b128 v[22:25], v[0:1], off offset:-8
	global_load_b128 v[26:29], v[16:17], off offset:-8
	s_wait_xcnt 0x1
	v_add_nc_u64_e32 v[0:1], s[4:5], v[0:1]
	s_wait_xcnt 0x0
	v_add_nc_u64_e32 v[16:17], s[6:7], v[16:17]
	v_add_nc_u32_e32 v18, 4, v18
	s_delay_alu instid0(VALU_DEP_1) | instskip(SKIP_4) | instid1(VALU_DEP_2)
	v_cmp_le_i32_e32 vcc_lo, s2, v18
	s_or_b32 s3, vcc_lo, s3
	s_wait_loadcnt 0x0
	v_mul_f64_e64 v[30:31], v[24:25], -v[28:29]
	v_mul_f64_e32 v[24:25], v[24:25], v[26:27]
	v_fmac_f64_e32 v[30:31], v[26:27], v[22:23]
	s_delay_alu instid0(VALU_DEP_2) | instskip(NEXT) | instid1(VALU_DEP_2)
	v_fmac_f64_e32 v[24:25], v[28:29], v[22:23]
	v_add_f64_e32 v[10:11], v[10:11], v[30:31]
	s_delay_alu instid0(VALU_DEP_2)
	v_add_f64_e32 v[12:13], v[12:13], v[24:25]
	s_and_not1_b32 exec_lo, exec_lo, s3
	s_cbranch_execnz .LBB27_23
; %bb.24:
	s_or_b32 exec_lo, exec_lo, s3
.LBB27_25:
	s_delay_alu instid0(SALU_CYCLE_1) | instskip(SKIP_4) | instid1(VALU_DEP_1)
	s_or_b32 exec_lo, exec_lo, s8
	s_wait_xcnt 0x0
	s_load_b64 s[0:1], s[0:1], 0x60
	v_lshlrev_b32_e32 v0, 6, v20
	s_mov_b32 s2, exec_lo
	v_lshl_or_b32 v1, v21, 4, v0
	ds_store_b128 v1, v[10:13]
	s_wait_dscnt 0x0
	s_barrier_signal -1
	s_barrier_wait -1
	v_cmpx_gt_u32_e32 2, v21
	s_cbranch_execz .LBB27_27
; %bb.26:
	ds_load_b128 v[10:13], v1
	ds_load_b128 v[16:19], v1 offset:32
	s_wait_dscnt 0x0
	v_add_f64_e32 v[10:11], v[16:17], v[10:11]
	v_add_f64_e32 v[12:13], v[18:19], v[12:13]
	ds_store_b128 v1, v[10:13]
.LBB27_27:
	s_or_b32 exec_lo, exec_lo, s2
	v_cmp_eq_u32_e32 vcc_lo, 0, v21
	s_wait_dscnt 0x0
	s_barrier_signal -1
	s_barrier_wait -1
	s_and_saveexec_b32 s2, vcc_lo
	s_cbranch_execz .LBB27_29
; %bb.28:
	ds_load_b128 v[10:13], v1
	ds_load_b128 v[16:19], v1 offset:16
	s_wait_dscnt 0x0
	v_add_f64_e32 v[10:11], v[16:17], v[10:11]
	v_add_f64_e32 v[12:13], v[18:19], v[12:13]
	ds_store_b128 v1, v[10:13]
.LBB27_29:
	s_or_b32 exec_lo, exec_lo, s2
	s_wait_dscnt 0x0
	s_barrier_signal -1
	s_barrier_wait -1
	s_and_b32 exec_lo, exec_lo, vcc_lo
	s_cbranch_execz .LBB27_31
; %bb.30:
	s_wait_kmcnt 0x0
	v_lshl_add_u64 v[18:19], v[14:15], 4, s[0:1]
	ds_load_b128 v[14:17], v0
	global_load_b128 v[10:13], v[18:19], off
	s_wait_dscnt 0x0
	v_mul_f64_e64 v[0:1], v[16:17], -v[4:5]
	v_mul_f64_e32 v[16:17], v[2:3], v[16:17]
	s_delay_alu instid0(VALU_DEP_2) | instskip(NEXT) | instid1(VALU_DEP_2)
	v_fmac_f64_e32 v[0:1], v[2:3], v[14:15]
	v_fmac_f64_e32 v[16:17], v[4:5], v[14:15]
	s_wait_loadcnt 0x0
	v_mul_f64_e64 v[20:21], v[8:9], -v[12:13]
	v_mul_f64_e32 v[8:9], v[8:9], v[10:11]
	s_delay_alu instid0(VALU_DEP_2) | instskip(NEXT) | instid1(VALU_DEP_2)
	v_fmac_f64_e32 v[20:21], v[10:11], v[6:7]
	v_fmac_f64_e32 v[8:9], v[12:13], v[6:7]
	s_delay_alu instid0(VALU_DEP_2) | instskip(NEXT) | instid1(VALU_DEP_2)
	v_add_f64_e32 v[0:1], v[20:21], v[0:1]
	v_add_f64_e32 v[2:3], v[8:9], v[16:17]
	global_store_b128 v[18:19], v[0:3], off
.LBB27_31:
	s_endpgm
	.section	.rodata,"a",@progbits
	.p2align	6, 0x0
	.amdhsa_kernel _ZN9rocsparseL16sddmm_ell_kernelILi512ELi4E21rocsparse_complex_numIdEiiS2_S2_S2_EEv20rocsparse_operation_S3_16rocsparse_order_S4_T3_S5_S5_T2_NS_24const_host_device_scalarIT1_EEPKT4_lPKT5_lS9_PT6_PKS5_21rocsparse_index_base_b
		.amdhsa_group_segment_fixed_size 8192
		.amdhsa_private_segment_fixed_size 0
		.amdhsa_kernarg_size 120
		.amdhsa_user_sgpr_count 2
		.amdhsa_user_sgpr_dispatch_ptr 0
		.amdhsa_user_sgpr_queue_ptr 0
		.amdhsa_user_sgpr_kernarg_segment_ptr 1
		.amdhsa_user_sgpr_dispatch_id 0
		.amdhsa_user_sgpr_kernarg_preload_length 0
		.amdhsa_user_sgpr_kernarg_preload_offset 0
		.amdhsa_user_sgpr_private_segment_size 0
		.amdhsa_wavefront_size32 1
		.amdhsa_uses_dynamic_stack 0
		.amdhsa_enable_private_segment 0
		.amdhsa_system_sgpr_workgroup_id_x 1
		.amdhsa_system_sgpr_workgroup_id_y 0
		.amdhsa_system_sgpr_workgroup_id_z 0
		.amdhsa_system_sgpr_workgroup_info 0
		.amdhsa_system_vgpr_workitem_id 0
		.amdhsa_next_free_vgpr 32
		.amdhsa_next_free_sgpr 15
		.amdhsa_named_barrier_count 0
		.amdhsa_reserve_vcc 1
		.amdhsa_float_round_mode_32 0
		.amdhsa_float_round_mode_16_64 0
		.amdhsa_float_denorm_mode_32 3
		.amdhsa_float_denorm_mode_16_64 3
		.amdhsa_fp16_overflow 0
		.amdhsa_memory_ordered 1
		.amdhsa_forward_progress 1
		.amdhsa_inst_pref_size 11
		.amdhsa_round_robin_scheduling 0
		.amdhsa_exception_fp_ieee_invalid_op 0
		.amdhsa_exception_fp_denorm_src 0
		.amdhsa_exception_fp_ieee_div_zero 0
		.amdhsa_exception_fp_ieee_overflow 0
		.amdhsa_exception_fp_ieee_underflow 0
		.amdhsa_exception_fp_ieee_inexact 0
		.amdhsa_exception_int_div_zero 0
	.end_amdhsa_kernel
	.section	.text._ZN9rocsparseL16sddmm_ell_kernelILi512ELi4E21rocsparse_complex_numIdEiiS2_S2_S2_EEv20rocsparse_operation_S3_16rocsparse_order_S4_T3_S5_S5_T2_NS_24const_host_device_scalarIT1_EEPKT4_lPKT5_lS9_PT6_PKS5_21rocsparse_index_base_b,"axG",@progbits,_ZN9rocsparseL16sddmm_ell_kernelILi512ELi4E21rocsparse_complex_numIdEiiS2_S2_S2_EEv20rocsparse_operation_S3_16rocsparse_order_S4_T3_S5_S5_T2_NS_24const_host_device_scalarIT1_EEPKT4_lPKT5_lS9_PT6_PKS5_21rocsparse_index_base_b,comdat
.Lfunc_end27:
	.size	_ZN9rocsparseL16sddmm_ell_kernelILi512ELi4E21rocsparse_complex_numIdEiiS2_S2_S2_EEv20rocsparse_operation_S3_16rocsparse_order_S4_T3_S5_S5_T2_NS_24const_host_device_scalarIT1_EEPKT4_lPKT5_lS9_PT6_PKS5_21rocsparse_index_base_b, .Lfunc_end27-_ZN9rocsparseL16sddmm_ell_kernelILi512ELi4E21rocsparse_complex_numIdEiiS2_S2_S2_EEv20rocsparse_operation_S3_16rocsparse_order_S4_T3_S5_S5_T2_NS_24const_host_device_scalarIT1_EEPKT4_lPKT5_lS9_PT6_PKS5_21rocsparse_index_base_b
                                        ; -- End function
	.set _ZN9rocsparseL16sddmm_ell_kernelILi512ELi4E21rocsparse_complex_numIdEiiS2_S2_S2_EEv20rocsparse_operation_S3_16rocsparse_order_S4_T3_S5_S5_T2_NS_24const_host_device_scalarIT1_EEPKT4_lPKT5_lS9_PT6_PKS5_21rocsparse_index_base_b.num_vgpr, 32
	.set _ZN9rocsparseL16sddmm_ell_kernelILi512ELi4E21rocsparse_complex_numIdEiiS2_S2_S2_EEv20rocsparse_operation_S3_16rocsparse_order_S4_T3_S5_S5_T2_NS_24const_host_device_scalarIT1_EEPKT4_lPKT5_lS9_PT6_PKS5_21rocsparse_index_base_b.num_agpr, 0
	.set _ZN9rocsparseL16sddmm_ell_kernelILi512ELi4E21rocsparse_complex_numIdEiiS2_S2_S2_EEv20rocsparse_operation_S3_16rocsparse_order_S4_T3_S5_S5_T2_NS_24const_host_device_scalarIT1_EEPKT4_lPKT5_lS9_PT6_PKS5_21rocsparse_index_base_b.numbered_sgpr, 15
	.set _ZN9rocsparseL16sddmm_ell_kernelILi512ELi4E21rocsparse_complex_numIdEiiS2_S2_S2_EEv20rocsparse_operation_S3_16rocsparse_order_S4_T3_S5_S5_T2_NS_24const_host_device_scalarIT1_EEPKT4_lPKT5_lS9_PT6_PKS5_21rocsparse_index_base_b.num_named_barrier, 0
	.set _ZN9rocsparseL16sddmm_ell_kernelILi512ELi4E21rocsparse_complex_numIdEiiS2_S2_S2_EEv20rocsparse_operation_S3_16rocsparse_order_S4_T3_S5_S5_T2_NS_24const_host_device_scalarIT1_EEPKT4_lPKT5_lS9_PT6_PKS5_21rocsparse_index_base_b.private_seg_size, 0
	.set _ZN9rocsparseL16sddmm_ell_kernelILi512ELi4E21rocsparse_complex_numIdEiiS2_S2_S2_EEv20rocsparse_operation_S3_16rocsparse_order_S4_T3_S5_S5_T2_NS_24const_host_device_scalarIT1_EEPKT4_lPKT5_lS9_PT6_PKS5_21rocsparse_index_base_b.uses_vcc, 1
	.set _ZN9rocsparseL16sddmm_ell_kernelILi512ELi4E21rocsparse_complex_numIdEiiS2_S2_S2_EEv20rocsparse_operation_S3_16rocsparse_order_S4_T3_S5_S5_T2_NS_24const_host_device_scalarIT1_EEPKT4_lPKT5_lS9_PT6_PKS5_21rocsparse_index_base_b.uses_flat_scratch, 0
	.set _ZN9rocsparseL16sddmm_ell_kernelILi512ELi4E21rocsparse_complex_numIdEiiS2_S2_S2_EEv20rocsparse_operation_S3_16rocsparse_order_S4_T3_S5_S5_T2_NS_24const_host_device_scalarIT1_EEPKT4_lPKT5_lS9_PT6_PKS5_21rocsparse_index_base_b.has_dyn_sized_stack, 0
	.set _ZN9rocsparseL16sddmm_ell_kernelILi512ELi4E21rocsparse_complex_numIdEiiS2_S2_S2_EEv20rocsparse_operation_S3_16rocsparse_order_S4_T3_S5_S5_T2_NS_24const_host_device_scalarIT1_EEPKT4_lPKT5_lS9_PT6_PKS5_21rocsparse_index_base_b.has_recursion, 0
	.set _ZN9rocsparseL16sddmm_ell_kernelILi512ELi4E21rocsparse_complex_numIdEiiS2_S2_S2_EEv20rocsparse_operation_S3_16rocsparse_order_S4_T3_S5_S5_T2_NS_24const_host_device_scalarIT1_EEPKT4_lPKT5_lS9_PT6_PKS5_21rocsparse_index_base_b.has_indirect_call, 0
	.section	.AMDGPU.csdata,"",@progbits
; Kernel info:
; codeLenInByte = 1284
; TotalNumSgprs: 17
; NumVgprs: 32
; ScratchSize: 0
; MemoryBound: 0
; FloatMode: 240
; IeeeMode: 1
; LDSByteSize: 8192 bytes/workgroup (compile time only)
; SGPRBlocks: 0
; VGPRBlocks: 1
; NumSGPRsForWavesPerEU: 17
; NumVGPRsForWavesPerEU: 32
; NamedBarCnt: 0
; Occupancy: 16
; WaveLimiterHint : 0
; COMPUTE_PGM_RSRC2:SCRATCH_EN: 0
; COMPUTE_PGM_RSRC2:USER_SGPR: 2
; COMPUTE_PGM_RSRC2:TRAP_HANDLER: 0
; COMPUTE_PGM_RSRC2:TGID_X_EN: 1
; COMPUTE_PGM_RSRC2:TGID_Y_EN: 0
; COMPUTE_PGM_RSRC2:TGID_Z_EN: 0
; COMPUTE_PGM_RSRC2:TIDIG_COMP_CNT: 0
	.section	.text._ZN9rocsparseL16sddmm_ell_kernelILi512ELi2E21rocsparse_complex_numIdEiiS2_S2_S2_EEv20rocsparse_operation_S3_16rocsparse_order_S4_T3_S5_S5_T2_NS_24const_host_device_scalarIT1_EEPKT4_lPKT5_lS9_PT6_PKS5_21rocsparse_index_base_b,"axG",@progbits,_ZN9rocsparseL16sddmm_ell_kernelILi512ELi2E21rocsparse_complex_numIdEiiS2_S2_S2_EEv20rocsparse_operation_S3_16rocsparse_order_S4_T3_S5_S5_T2_NS_24const_host_device_scalarIT1_EEPKT4_lPKT5_lS9_PT6_PKS5_21rocsparse_index_base_b,comdat
	.globl	_ZN9rocsparseL16sddmm_ell_kernelILi512ELi2E21rocsparse_complex_numIdEiiS2_S2_S2_EEv20rocsparse_operation_S3_16rocsparse_order_S4_T3_S5_S5_T2_NS_24const_host_device_scalarIT1_EEPKT4_lPKT5_lS9_PT6_PKS5_21rocsparse_index_base_b ; -- Begin function _ZN9rocsparseL16sddmm_ell_kernelILi512ELi2E21rocsparse_complex_numIdEiiS2_S2_S2_EEv20rocsparse_operation_S3_16rocsparse_order_S4_T3_S5_S5_T2_NS_24const_host_device_scalarIT1_EEPKT4_lPKT5_lS9_PT6_PKS5_21rocsparse_index_base_b
	.p2align	8
	.type	_ZN9rocsparseL16sddmm_ell_kernelILi512ELi2E21rocsparse_complex_numIdEiiS2_S2_S2_EEv20rocsparse_operation_S3_16rocsparse_order_S4_T3_S5_S5_T2_NS_24const_host_device_scalarIT1_EEPKT4_lPKT5_lS9_PT6_PKS5_21rocsparse_index_base_b,@function
_ZN9rocsparseL16sddmm_ell_kernelILi512ELi2E21rocsparse_complex_numIdEiiS2_S2_S2_EEv20rocsparse_operation_S3_16rocsparse_order_S4_T3_S5_S5_T2_NS_24const_host_device_scalarIT1_EEPKT4_lPKT5_lS9_PT6_PKS5_21rocsparse_index_base_b: ; @_ZN9rocsparseL16sddmm_ell_kernelILi512ELi2E21rocsparse_complex_numIdEiiS2_S2_S2_EEv20rocsparse_operation_S3_16rocsparse_order_S4_T3_S5_S5_T2_NS_24const_host_device_scalarIT1_EEPKT4_lPKT5_lS9_PT6_PKS5_21rocsparse_index_base_b
; %bb.0:
	s_clause 0x1
	s_load_b64 s[8:9], s[0:1], 0x70
	s_load_b64 s[2:3], s[0:1], 0x20
	v_mov_b32_e32 v1, 0
	s_add_nc_u64 s[10:11], s[0:1], 32
	s_load_b128 s[4:7], s[0:1], 0x48
	s_wait_kmcnt 0x0
	s_bitcmp1_b32 s9, 0
	s_cselect_b32 s3, s11, s3
	s_cselect_b32 s2, s10, s2
	flat_load_b128 v[2:5], v1, s[2:3]
	s_wait_xcnt 0x0
	s_add_nc_u64 s[2:3], s[0:1], 0x50
	s_delay_alu instid0(SALU_CYCLE_1)
	s_cselect_b32 s3, s3, s7
	s_cselect_b32 s2, s2, s6
	flat_load_b128 v[6:9], v1, s[2:3]
	s_wait_loadcnt_dscnt 0x101
	v_cmp_eq_f64_e32 vcc_lo, 0, v[2:3]
	s_wait_xcnt 0x0
	v_cmp_eq_f64_e64 s2, 0, v[4:5]
	s_and_b32 s6, vcc_lo, s2
	s_mov_b32 s2, -1
	s_and_saveexec_b32 s3, s6
	s_cbranch_execz .LBB28_2
; %bb.1:
	s_wait_loadcnt_dscnt 0x0
	v_cmp_neq_f64_e32 vcc_lo, 1.0, v[6:7]
	v_cmp_neq_f64_e64 s2, 0, v[8:9]
	s_or_b32 s2, vcc_lo, s2
	s_delay_alu instid0(SALU_CYCLE_1)
	s_or_not1_b32 s2, s2, exec_lo
.LBB28_2:
	s_or_b32 exec_lo, exec_lo, s3
	s_and_saveexec_b32 s3, s2
	s_cbranch_execz .LBB28_29
; %bb.3:
	s_load_b64 s[2:3], s[0:1], 0x18
	s_bfe_u32 s6, ttmp6, 0x4000c
	s_and_b32 s7, ttmp6, 15
	s_add_co_i32 s6, s6, 1
	s_getreg_b32 s9, hwreg(HW_REG_IB_STS2, 6, 4)
	s_mul_i32 s6, ttmp9, s6
	v_lshrrev_b32_e32 v20, 1, v0
	s_add_co_i32 s7, s7, s6
	s_cmp_eq_u32 s9, 0
	s_cselect_b32 s6, ttmp9, s7
	s_delay_alu instid0(VALU_DEP_1) | instid1(SALU_CYCLE_1)
	v_lshl_or_b32 v14, s6, 8, v20
	s_wait_kmcnt 0x0
	s_delay_alu instid0(VALU_DEP_1)
	v_cmp_gt_i32_e32 vcc_lo, s3, v14
	s_and_b32 exec_lo, exec_lo, vcc_lo
	s_cbranch_execz .LBB28_29
; %bb.4:
	s_load_b64 s[6:7], s[0:1], 0x68
	s_mov_b32 s13, -1
	s_wait_kmcnt 0x0
	global_load_b32 v1, v14, s[6:7] scale_offset
	s_wait_loadcnt 0x0
	v_subrev_nc_u32_e32 v10, s8, v1
	s_delay_alu instid0(VALU_DEP_1)
	v_cmp_lt_i32_e32 vcc_lo, -1, v10
	s_and_b32 exec_lo, exec_lo, vcc_lo
	s_cbranch_execz .LBB28_29
; %bb.5:
	s_clause 0x1
	s_load_b128 s[8:11], s[0:1], 0x0
	s_load_b32 s6, s[0:1], 0x10
                                        ; implicit-def: $vgpr16_vgpr17
	v_ashrrev_i32_e32 v15, 31, v14
	s_wait_kmcnt 0x0
	s_cmp_eq_u32 s10, 1
	s_cselect_b32 s3, -1, 0
	s_cmp_eq_u32 s8, 0x6f
	s_cselect_b32 s12, -1, 0
	s_cmp_lg_u32 s8, 0x6f
	s_cselect_b32 s8, -1, 0
	s_abs_i32 s14, s6
	s_delay_alu instid0(SALU_CYCLE_1) | instskip(SKIP_1) | instid1(SALU_CYCLE_2)
	s_cvt_f32_u32 s6, s14
	s_sub_co_i32 s7, 0, s14
	v_rcp_iflag_f32_e32 v1, s6
	v_nop
	s_delay_alu instid0(TRANS32_DEP_1) | instskip(SKIP_2) | instid1(VALU_DEP_1)
	v_readfirstlane_b32 s6, v1
	v_sub_nc_u32_e32 v1, 0, v14
	s_mul_f32 s6, s6, 0x4f7ffffe
	v_max_i32_e32 v1, v14, v1
	s_delay_alu instid0(SALU_CYCLE_2) | instskip(NEXT) | instid1(SALU_CYCLE_3)
	s_cvt_u32_f32 s6, s6
	s_mul_i32 s7, s7, s6
	s_delay_alu instid0(SALU_CYCLE_1) | instskip(NEXT) | instid1(SALU_CYCLE_1)
	s_mul_hi_u32 s7, s6, s7
	s_add_co_i32 s6, s6, s7
	s_cmp_lg_u32 s10, 1
	v_mul_hi_u32 v11, v1, s6
	s_load_b64 s[6:7], s[0:1], 0x38
	s_delay_alu instid0(VALU_DEP_1) | instskip(NEXT) | instid1(VALU_DEP_1)
	v_mul_lo_u32 v11, v11, s14
	v_sub_nc_u32_e32 v1, v1, v11
	s_delay_alu instid0(VALU_DEP_1) | instskip(SKIP_1) | instid1(VALU_DEP_2)
	v_subrev_nc_u32_e32 v11, s14, v1
	v_cmp_le_u32_e32 vcc_lo, s14, v1
	v_cndmask_b32_e32 v1, v1, v11, vcc_lo
	s_delay_alu instid0(VALU_DEP_1) | instskip(SKIP_1) | instid1(VALU_DEP_2)
	v_subrev_nc_u32_e32 v11, s14, v1
	v_cmp_le_u32_e32 vcc_lo, s14, v1
	v_cndmask_b32_e32 v1, v1, v11, vcc_lo
	s_delay_alu instid0(VALU_DEP_1) | instskip(NEXT) | instid1(VALU_DEP_1)
	v_xor_b32_e32 v1, v1, v15
	v_sub_nc_u32_e32 v12, v1, v15
	s_delay_alu instid0(VALU_DEP_1)
	v_ashrrev_i32_e32 v13, 31, v12
	s_cbranch_scc0 .LBB28_9
; %bb.6:
	s_delay_alu instid0(VALU_DEP_1)
	v_mov_b64_e32 v[16:17], v[12:13]
	s_and_not1_b32 vcc_lo, exec_lo, s12
	s_cbranch_vccnz .LBB28_8
; %bb.7:
	s_wait_kmcnt 0x0
	v_mul_u64_e32 v[16:17], s[6:7], v[12:13]
.LBB28_8:
	s_mov_b32 s13, 0
.LBB28_9:
	s_delay_alu instid0(SALU_CYCLE_1)
	s_and_not1_b32 vcc_lo, exec_lo, s13
	s_cbranch_vccnz .LBB28_13
; %bb.10:
	s_and_not1_b32 vcc_lo, exec_lo, s8
	s_cbranch_vccnz .LBB28_12
; %bb.11:
	s_wait_kmcnt 0x0
	v_mul_u64_e32 v[12:13], s[6:7], v[12:13]
.LBB28_12:
	s_delay_alu instid0(VALU_DEP_1)
	v_mov_b64_e32 v[16:17], v[12:13]
.LBB28_13:
	s_cmp_eq_u32 s11, 1
	v_mov_b32_e32 v11, 0
	s_cselect_b32 s10, -1, 0
	s_cmp_eq_u32 s9, 0x6f
	s_cselect_b32 s13, -1, 0
	s_cmp_lg_u32 s9, 0x6f
	s_cselect_b32 s8, -1, 0
	s_cmp_lg_u32 s11, 1
	s_cbranch_scc0 .LBB28_17
; %bb.14:
	v_mov_b64_e32 v[18:19], v[10:11]
	s_and_not1_b32 vcc_lo, exec_lo, s8
	s_cbranch_vccnz .LBB28_16
; %bb.15:
	v_mul_u64_e32 v[18:19], s[4:5], v[10:11]
.LBB28_16:
	s_cbranch_execz .LBB28_18
	s_branch .LBB28_21
.LBB28_17:
                                        ; implicit-def: $vgpr18_vgpr19
.LBB28_18:
	s_and_not1_b32 vcc_lo, exec_lo, s13
	s_cbranch_vccnz .LBB28_20
; %bb.19:
	v_mul_u64_e32 v[10:11], s[4:5], v[10:11]
.LBB28_20:
	s_delay_alu instid0(VALU_DEP_1)
	v_mov_b64_e32 v[18:19], v[10:11]
.LBB28_21:
	v_mov_b64_e32 v[12:13], 0
	v_mov_b64_e32 v[10:11], 0
	v_and_b32_e32 v21, 1, v0
	s_mov_b32 s8, exec_lo
	s_delay_alu instid0(VALU_DEP_1)
	v_cmpx_gt_i32_e64 s2, v21
	s_cbranch_execz .LBB28_25
; %bb.22:
	s_xor_b32 s3, s12, s3
	v_dual_mov_b32 v1, 0 :: v_dual_bitop2_b32 v0, 1, v0 bitop3:0x40
	s_and_b32 s3, s3, exec_lo
	s_wait_kmcnt 0x0
	s_cselect_b32 s7, 0, s7
	s_cselect_b32 s6, 1, s6
	s_xor_b32 s3, s13, s10
	s_clause 0x1
	s_load_b64 s[10:11], s[0:1], 0x40
	s_load_b64 s[12:13], s[0:1], 0x30
	s_and_b32 s3, s3, exec_lo
	s_cselect_b32 s5, s5, 0
	s_cselect_b32 s4, s4, 1
	v_lshlrev_b64_e32 v[12:13], 4, v[18:19]
	v_mul_u64_e32 v[10:11], s[4:5], v[0:1]
	v_mul_u64_e32 v[0:1], s[6:7], v[0:1]
	v_lshlrev_b64_e32 v[16:17], 4, v[16:17]
	v_mov_b32_e32 v18, v21
	s_mov_b32 s3, 0
	s_lshl_b64 s[4:5], s[4:5], 5
	s_lshl_b64 s[6:7], s[6:7], 5
	s_delay_alu instid0(VALU_DEP_4) | instskip(NEXT) | instid1(VALU_DEP_3)
	v_lshl_add_u64 v[10:11], v[10:11], 4, v[12:13]
	v_lshl_add_u64 v[0:1], v[0:1], 4, v[16:17]
	v_mov_b64_e32 v[12:13], 0
	s_wait_kmcnt 0x0
	s_delay_alu instid0(VALU_DEP_3) | instskip(NEXT) | instid1(VALU_DEP_3)
	v_add_nc_u64_e32 v[10:11], s[10:11], v[10:11]
	v_add_nc_u64_e32 v[16:17], s[12:13], v[0:1]
	s_delay_alu instid0(VALU_DEP_2) | instskip(NEXT) | instid1(VALU_DEP_2)
	v_add_nc_u64_e32 v[0:1], 8, v[10:11]
	v_add_nc_u64_e32 v[16:17], 8, v[16:17]
	v_mov_b64_e32 v[10:11], v[12:13]
.LBB28_23:                              ; =>This Inner Loop Header: Depth=1
	global_load_b128 v[22:25], v[0:1], off offset:-8
	global_load_b128 v[26:29], v[16:17], off offset:-8
	s_wait_xcnt 0x1
	v_add_nc_u64_e32 v[0:1], s[4:5], v[0:1]
	s_wait_xcnt 0x0
	v_add_nc_u64_e32 v[16:17], s[6:7], v[16:17]
	v_add_nc_u32_e32 v18, 2, v18
	s_delay_alu instid0(VALU_DEP_1) | instskip(SKIP_4) | instid1(VALU_DEP_2)
	v_cmp_le_i32_e32 vcc_lo, s2, v18
	s_or_b32 s3, vcc_lo, s3
	s_wait_loadcnt 0x0
	v_mul_f64_e64 v[30:31], v[24:25], -v[28:29]
	v_mul_f64_e32 v[24:25], v[24:25], v[26:27]
	v_fmac_f64_e32 v[30:31], v[26:27], v[22:23]
	s_delay_alu instid0(VALU_DEP_2) | instskip(NEXT) | instid1(VALU_DEP_2)
	v_fmac_f64_e32 v[24:25], v[28:29], v[22:23]
	v_add_f64_e32 v[10:11], v[10:11], v[30:31]
	s_delay_alu instid0(VALU_DEP_2)
	v_add_f64_e32 v[12:13], v[12:13], v[24:25]
	s_and_not1_b32 exec_lo, exec_lo, s3
	s_cbranch_execnz .LBB28_23
; %bb.24:
	s_or_b32 exec_lo, exec_lo, s3
.LBB28_25:
	s_delay_alu instid0(SALU_CYCLE_1) | instskip(SKIP_4) | instid1(VALU_DEP_2)
	s_or_b32 exec_lo, exec_lo, s8
	s_wait_xcnt 0x0
	s_load_b64 s[0:1], s[0:1], 0x60
	v_lshlrev_b32_e32 v0, 5, v20
	v_cmp_eq_u32_e32 vcc_lo, 0, v21
	v_lshl_or_b32 v1, v21, 4, v0
	ds_store_b128 v1, v[10:13]
	s_wait_dscnt 0x0
	s_barrier_signal -1
	s_barrier_wait -1
	s_and_saveexec_b32 s2, vcc_lo
	s_cbranch_execz .LBB28_27
; %bb.26:
	ds_load_b128 v[10:13], v0 offset:16
	ds_load_b128 v[16:19], v1
	s_wait_dscnt 0x0
	v_add_f64_e32 v[10:11], v[10:11], v[16:17]
	v_add_f64_e32 v[12:13], v[12:13], v[18:19]
	ds_store_b128 v1, v[10:13]
.LBB28_27:
	s_or_b32 exec_lo, exec_lo, s2
	s_wait_dscnt 0x0
	s_barrier_signal -1
	s_barrier_wait -1
	s_and_b32 exec_lo, exec_lo, vcc_lo
	s_cbranch_execz .LBB28_29
; %bb.28:
	s_wait_kmcnt 0x0
	v_lshl_add_u64 v[18:19], v[14:15], 4, s[0:1]
	ds_load_b128 v[14:17], v0
	global_load_b128 v[10:13], v[18:19], off
	s_wait_dscnt 0x0
	v_mul_f64_e64 v[0:1], v[16:17], -v[4:5]
	v_mul_f64_e32 v[16:17], v[2:3], v[16:17]
	s_delay_alu instid0(VALU_DEP_2) | instskip(NEXT) | instid1(VALU_DEP_2)
	v_fmac_f64_e32 v[0:1], v[2:3], v[14:15]
	v_fmac_f64_e32 v[16:17], v[4:5], v[14:15]
	s_wait_loadcnt 0x0
	v_mul_f64_e64 v[20:21], v[8:9], -v[12:13]
	v_mul_f64_e32 v[8:9], v[8:9], v[10:11]
	s_delay_alu instid0(VALU_DEP_2) | instskip(NEXT) | instid1(VALU_DEP_2)
	v_fmac_f64_e32 v[20:21], v[10:11], v[6:7]
	v_fmac_f64_e32 v[8:9], v[12:13], v[6:7]
	s_delay_alu instid0(VALU_DEP_2) | instskip(NEXT) | instid1(VALU_DEP_2)
	v_add_f64_e32 v[0:1], v[20:21], v[0:1]
	v_add_f64_e32 v[2:3], v[8:9], v[16:17]
	global_store_b128 v[18:19], v[0:3], off
.LBB28_29:
	s_endpgm
	.section	.rodata,"a",@progbits
	.p2align	6, 0x0
	.amdhsa_kernel _ZN9rocsparseL16sddmm_ell_kernelILi512ELi2E21rocsparse_complex_numIdEiiS2_S2_S2_EEv20rocsparse_operation_S3_16rocsparse_order_S4_T3_S5_S5_T2_NS_24const_host_device_scalarIT1_EEPKT4_lPKT5_lS9_PT6_PKS5_21rocsparse_index_base_b
		.amdhsa_group_segment_fixed_size 8192
		.amdhsa_private_segment_fixed_size 0
		.amdhsa_kernarg_size 120
		.amdhsa_user_sgpr_count 2
		.amdhsa_user_sgpr_dispatch_ptr 0
		.amdhsa_user_sgpr_queue_ptr 0
		.amdhsa_user_sgpr_kernarg_segment_ptr 1
		.amdhsa_user_sgpr_dispatch_id 0
		.amdhsa_user_sgpr_kernarg_preload_length 0
		.amdhsa_user_sgpr_kernarg_preload_offset 0
		.amdhsa_user_sgpr_private_segment_size 0
		.amdhsa_wavefront_size32 1
		.amdhsa_uses_dynamic_stack 0
		.amdhsa_enable_private_segment 0
		.amdhsa_system_sgpr_workgroup_id_x 1
		.amdhsa_system_sgpr_workgroup_id_y 0
		.amdhsa_system_sgpr_workgroup_id_z 0
		.amdhsa_system_sgpr_workgroup_info 0
		.amdhsa_system_vgpr_workitem_id 0
		.amdhsa_next_free_vgpr 32
		.amdhsa_next_free_sgpr 15
		.amdhsa_named_barrier_count 0
		.amdhsa_reserve_vcc 1
		.amdhsa_float_round_mode_32 0
		.amdhsa_float_round_mode_16_64 0
		.amdhsa_float_denorm_mode_32 3
		.amdhsa_float_denorm_mode_16_64 3
		.amdhsa_fp16_overflow 0
		.amdhsa_memory_ordered 1
		.amdhsa_forward_progress 1
		.amdhsa_inst_pref_size 10
		.amdhsa_round_robin_scheduling 0
		.amdhsa_exception_fp_ieee_invalid_op 0
		.amdhsa_exception_fp_denorm_src 0
		.amdhsa_exception_fp_ieee_div_zero 0
		.amdhsa_exception_fp_ieee_overflow 0
		.amdhsa_exception_fp_ieee_underflow 0
		.amdhsa_exception_fp_ieee_inexact 0
		.amdhsa_exception_int_div_zero 0
	.end_amdhsa_kernel
	.section	.text._ZN9rocsparseL16sddmm_ell_kernelILi512ELi2E21rocsparse_complex_numIdEiiS2_S2_S2_EEv20rocsparse_operation_S3_16rocsparse_order_S4_T3_S5_S5_T2_NS_24const_host_device_scalarIT1_EEPKT4_lPKT5_lS9_PT6_PKS5_21rocsparse_index_base_b,"axG",@progbits,_ZN9rocsparseL16sddmm_ell_kernelILi512ELi2E21rocsparse_complex_numIdEiiS2_S2_S2_EEv20rocsparse_operation_S3_16rocsparse_order_S4_T3_S5_S5_T2_NS_24const_host_device_scalarIT1_EEPKT4_lPKT5_lS9_PT6_PKS5_21rocsparse_index_base_b,comdat
.Lfunc_end28:
	.size	_ZN9rocsparseL16sddmm_ell_kernelILi512ELi2E21rocsparse_complex_numIdEiiS2_S2_S2_EEv20rocsparse_operation_S3_16rocsparse_order_S4_T3_S5_S5_T2_NS_24const_host_device_scalarIT1_EEPKT4_lPKT5_lS9_PT6_PKS5_21rocsparse_index_base_b, .Lfunc_end28-_ZN9rocsparseL16sddmm_ell_kernelILi512ELi2E21rocsparse_complex_numIdEiiS2_S2_S2_EEv20rocsparse_operation_S3_16rocsparse_order_S4_T3_S5_S5_T2_NS_24const_host_device_scalarIT1_EEPKT4_lPKT5_lS9_PT6_PKS5_21rocsparse_index_base_b
                                        ; -- End function
	.set _ZN9rocsparseL16sddmm_ell_kernelILi512ELi2E21rocsparse_complex_numIdEiiS2_S2_S2_EEv20rocsparse_operation_S3_16rocsparse_order_S4_T3_S5_S5_T2_NS_24const_host_device_scalarIT1_EEPKT4_lPKT5_lS9_PT6_PKS5_21rocsparse_index_base_b.num_vgpr, 32
	.set _ZN9rocsparseL16sddmm_ell_kernelILi512ELi2E21rocsparse_complex_numIdEiiS2_S2_S2_EEv20rocsparse_operation_S3_16rocsparse_order_S4_T3_S5_S5_T2_NS_24const_host_device_scalarIT1_EEPKT4_lPKT5_lS9_PT6_PKS5_21rocsparse_index_base_b.num_agpr, 0
	.set _ZN9rocsparseL16sddmm_ell_kernelILi512ELi2E21rocsparse_complex_numIdEiiS2_S2_S2_EEv20rocsparse_operation_S3_16rocsparse_order_S4_T3_S5_S5_T2_NS_24const_host_device_scalarIT1_EEPKT4_lPKT5_lS9_PT6_PKS5_21rocsparse_index_base_b.numbered_sgpr, 15
	.set _ZN9rocsparseL16sddmm_ell_kernelILi512ELi2E21rocsparse_complex_numIdEiiS2_S2_S2_EEv20rocsparse_operation_S3_16rocsparse_order_S4_T3_S5_S5_T2_NS_24const_host_device_scalarIT1_EEPKT4_lPKT5_lS9_PT6_PKS5_21rocsparse_index_base_b.num_named_barrier, 0
	.set _ZN9rocsparseL16sddmm_ell_kernelILi512ELi2E21rocsparse_complex_numIdEiiS2_S2_S2_EEv20rocsparse_operation_S3_16rocsparse_order_S4_T3_S5_S5_T2_NS_24const_host_device_scalarIT1_EEPKT4_lPKT5_lS9_PT6_PKS5_21rocsparse_index_base_b.private_seg_size, 0
	.set _ZN9rocsparseL16sddmm_ell_kernelILi512ELi2E21rocsparse_complex_numIdEiiS2_S2_S2_EEv20rocsparse_operation_S3_16rocsparse_order_S4_T3_S5_S5_T2_NS_24const_host_device_scalarIT1_EEPKT4_lPKT5_lS9_PT6_PKS5_21rocsparse_index_base_b.uses_vcc, 1
	.set _ZN9rocsparseL16sddmm_ell_kernelILi512ELi2E21rocsparse_complex_numIdEiiS2_S2_S2_EEv20rocsparse_operation_S3_16rocsparse_order_S4_T3_S5_S5_T2_NS_24const_host_device_scalarIT1_EEPKT4_lPKT5_lS9_PT6_PKS5_21rocsparse_index_base_b.uses_flat_scratch, 0
	.set _ZN9rocsparseL16sddmm_ell_kernelILi512ELi2E21rocsparse_complex_numIdEiiS2_S2_S2_EEv20rocsparse_operation_S3_16rocsparse_order_S4_T3_S5_S5_T2_NS_24const_host_device_scalarIT1_EEPKT4_lPKT5_lS9_PT6_PKS5_21rocsparse_index_base_b.has_dyn_sized_stack, 0
	.set _ZN9rocsparseL16sddmm_ell_kernelILi512ELi2E21rocsparse_complex_numIdEiiS2_S2_S2_EEv20rocsparse_operation_S3_16rocsparse_order_S4_T3_S5_S5_T2_NS_24const_host_device_scalarIT1_EEPKT4_lPKT5_lS9_PT6_PKS5_21rocsparse_index_base_b.has_recursion, 0
	.set _ZN9rocsparseL16sddmm_ell_kernelILi512ELi2E21rocsparse_complex_numIdEiiS2_S2_S2_EEv20rocsparse_operation_S3_16rocsparse_order_S4_T3_S5_S5_T2_NS_24const_host_device_scalarIT1_EEPKT4_lPKT5_lS9_PT6_PKS5_21rocsparse_index_base_b.has_indirect_call, 0
	.section	.AMDGPU.csdata,"",@progbits
; Kernel info:
; codeLenInByte = 1220
; TotalNumSgprs: 17
; NumVgprs: 32
; ScratchSize: 0
; MemoryBound: 0
; FloatMode: 240
; IeeeMode: 1
; LDSByteSize: 8192 bytes/workgroup (compile time only)
; SGPRBlocks: 0
; VGPRBlocks: 1
; NumSGPRsForWavesPerEU: 17
; NumVGPRsForWavesPerEU: 32
; NamedBarCnt: 0
; Occupancy: 16
; WaveLimiterHint : 0
; COMPUTE_PGM_RSRC2:SCRATCH_EN: 0
; COMPUTE_PGM_RSRC2:USER_SGPR: 2
; COMPUTE_PGM_RSRC2:TRAP_HANDLER: 0
; COMPUTE_PGM_RSRC2:TGID_X_EN: 1
; COMPUTE_PGM_RSRC2:TGID_Y_EN: 0
; COMPUTE_PGM_RSRC2:TGID_Z_EN: 0
; COMPUTE_PGM_RSRC2:TIDIG_COMP_CNT: 0
	.section	.text._ZN9rocsparseL16sddmm_ell_kernelILi512ELi1E21rocsparse_complex_numIdEiiS2_S2_S2_EEv20rocsparse_operation_S3_16rocsparse_order_S4_T3_S5_S5_T2_NS_24const_host_device_scalarIT1_EEPKT4_lPKT5_lS9_PT6_PKS5_21rocsparse_index_base_b,"axG",@progbits,_ZN9rocsparseL16sddmm_ell_kernelILi512ELi1E21rocsparse_complex_numIdEiiS2_S2_S2_EEv20rocsparse_operation_S3_16rocsparse_order_S4_T3_S5_S5_T2_NS_24const_host_device_scalarIT1_EEPKT4_lPKT5_lS9_PT6_PKS5_21rocsparse_index_base_b,comdat
	.globl	_ZN9rocsparseL16sddmm_ell_kernelILi512ELi1E21rocsparse_complex_numIdEiiS2_S2_S2_EEv20rocsparse_operation_S3_16rocsparse_order_S4_T3_S5_S5_T2_NS_24const_host_device_scalarIT1_EEPKT4_lPKT5_lS9_PT6_PKS5_21rocsparse_index_base_b ; -- Begin function _ZN9rocsparseL16sddmm_ell_kernelILi512ELi1E21rocsparse_complex_numIdEiiS2_S2_S2_EEv20rocsparse_operation_S3_16rocsparse_order_S4_T3_S5_S5_T2_NS_24const_host_device_scalarIT1_EEPKT4_lPKT5_lS9_PT6_PKS5_21rocsparse_index_base_b
	.p2align	8
	.type	_ZN9rocsparseL16sddmm_ell_kernelILi512ELi1E21rocsparse_complex_numIdEiiS2_S2_S2_EEv20rocsparse_operation_S3_16rocsparse_order_S4_T3_S5_S5_T2_NS_24const_host_device_scalarIT1_EEPKT4_lPKT5_lS9_PT6_PKS5_21rocsparse_index_base_b,@function
_ZN9rocsparseL16sddmm_ell_kernelILi512ELi1E21rocsparse_complex_numIdEiiS2_S2_S2_EEv20rocsparse_operation_S3_16rocsparse_order_S4_T3_S5_S5_T2_NS_24const_host_device_scalarIT1_EEPKT4_lPKT5_lS9_PT6_PKS5_21rocsparse_index_base_b: ; @_ZN9rocsparseL16sddmm_ell_kernelILi512ELi1E21rocsparse_complex_numIdEiiS2_S2_S2_EEv20rocsparse_operation_S3_16rocsparse_order_S4_T3_S5_S5_T2_NS_24const_host_device_scalarIT1_EEPKT4_lPKT5_lS9_PT6_PKS5_21rocsparse_index_base_b
; %bb.0:
	s_clause 0x1
	s_load_b64 s[8:9], s[0:1], 0x70
	s_load_b64 s[2:3], s[0:1], 0x20
	v_mov_b32_e32 v1, 0
	s_add_nc_u64 s[10:11], s[0:1], 32
	s_load_b128 s[4:7], s[0:1], 0x48
	s_wait_kmcnt 0x0
	s_bitcmp1_b32 s9, 0
	s_cselect_b32 s3, s11, s3
	s_cselect_b32 s2, s10, s2
	flat_load_b128 v[2:5], v1, s[2:3]
	s_wait_xcnt 0x0
	s_add_nc_u64 s[2:3], s[0:1], 0x50
	s_delay_alu instid0(SALU_CYCLE_1)
	s_cselect_b32 s3, s3, s7
	s_cselect_b32 s2, s2, s6
	flat_load_b128 v[6:9], v1, s[2:3]
	s_wait_loadcnt_dscnt 0x101
	v_cmp_eq_f64_e32 vcc_lo, 0, v[2:3]
	s_wait_xcnt 0x0
	v_cmp_eq_f64_e64 s2, 0, v[4:5]
	s_and_b32 s6, vcc_lo, s2
	s_mov_b32 s2, -1
	s_and_saveexec_b32 s3, s6
	s_cbranch_execz .LBB29_2
; %bb.1:
	s_wait_loadcnt_dscnt 0x0
	v_cmp_neq_f64_e32 vcc_lo, 1.0, v[6:7]
	v_cmp_neq_f64_e64 s2, 0, v[8:9]
	s_or_b32 s2, vcc_lo, s2
	s_delay_alu instid0(SALU_CYCLE_1)
	s_or_not1_b32 s2, s2, exec_lo
.LBB29_2:
	s_or_b32 exec_lo, exec_lo, s3
	s_and_saveexec_b32 s3, s2
	s_cbranch_execz .LBB29_26
; %bb.3:
	s_load_b64 s[2:3], s[0:1], 0x18
	s_bfe_u32 s6, ttmp6, 0x4000c
	s_and_b32 s7, ttmp6, 15
	s_add_co_i32 s6, s6, 1
	s_getreg_b32 s9, hwreg(HW_REG_IB_STS2, 6, 4)
	s_mul_i32 s6, ttmp9, s6
	s_delay_alu instid0(SALU_CYCLE_1) | instskip(SKIP_2) | instid1(SALU_CYCLE_1)
	s_add_co_i32 s7, s7, s6
	s_cmp_eq_u32 s9, 0
	s_cselect_b32 s6, ttmp9, s7
	v_lshl_or_b32 v14, s6, 9, v0
	s_wait_kmcnt 0x0
	s_delay_alu instid0(VALU_DEP_1)
	v_cmp_gt_i32_e32 vcc_lo, s3, v14
	s_and_b32 exec_lo, exec_lo, vcc_lo
	s_cbranch_execz .LBB29_26
; %bb.4:
	s_load_b64 s[6:7], s[0:1], 0x68
	s_mov_b32 s13, -1
	s_wait_kmcnt 0x0
	global_load_b32 v1, v14, s[6:7] scale_offset
	s_wait_loadcnt 0x0
	v_subrev_nc_u32_e32 v10, s8, v1
	s_delay_alu instid0(VALU_DEP_1)
	v_cmp_lt_i32_e32 vcc_lo, -1, v10
	s_and_b32 exec_lo, exec_lo, vcc_lo
	s_cbranch_execz .LBB29_26
; %bb.5:
	s_clause 0x1
	s_load_b128 s[8:11], s[0:1], 0x0
	s_load_b32 s6, s[0:1], 0x10
                                        ; implicit-def: $vgpr16_vgpr17
	v_ashrrev_i32_e32 v15, 31, v14
	s_wait_kmcnt 0x0
	s_cmp_eq_u32 s10, 1
	s_cselect_b32 s3, -1, 0
	s_cmp_eq_u32 s8, 0x6f
	s_cselect_b32 s12, -1, 0
	s_cmp_lg_u32 s8, 0x6f
	s_cselect_b32 s8, -1, 0
	s_abs_i32 s14, s6
	s_delay_alu instid0(SALU_CYCLE_1) | instskip(SKIP_1) | instid1(SALU_CYCLE_2)
	s_cvt_f32_u32 s6, s14
	s_sub_co_i32 s7, 0, s14
	v_rcp_iflag_f32_e32 v1, s6
	v_nop
	s_delay_alu instid0(TRANS32_DEP_1) | instskip(SKIP_2) | instid1(VALU_DEP_1)
	v_readfirstlane_b32 s6, v1
	v_sub_nc_u32_e32 v1, 0, v14
	s_mul_f32 s6, s6, 0x4f7ffffe
	v_max_i32_e32 v1, v14, v1
	s_delay_alu instid0(SALU_CYCLE_2) | instskip(NEXT) | instid1(SALU_CYCLE_3)
	s_cvt_u32_f32 s6, s6
	s_mul_i32 s7, s7, s6
	s_delay_alu instid0(SALU_CYCLE_1) | instskip(NEXT) | instid1(SALU_CYCLE_1)
	s_mul_hi_u32 s7, s6, s7
	s_add_co_i32 s6, s6, s7
	s_cmp_lg_u32 s10, 1
	v_mul_hi_u32 v11, v1, s6
	s_load_b64 s[6:7], s[0:1], 0x38
	s_delay_alu instid0(VALU_DEP_1) | instskip(NEXT) | instid1(VALU_DEP_1)
	v_mul_lo_u32 v11, v11, s14
	v_sub_nc_u32_e32 v1, v1, v11
	s_delay_alu instid0(VALU_DEP_1) | instskip(SKIP_1) | instid1(VALU_DEP_2)
	v_subrev_nc_u32_e32 v11, s14, v1
	v_cmp_le_u32_e32 vcc_lo, s14, v1
	v_cndmask_b32_e32 v1, v1, v11, vcc_lo
	s_delay_alu instid0(VALU_DEP_1) | instskip(SKIP_1) | instid1(VALU_DEP_2)
	v_subrev_nc_u32_e32 v11, s14, v1
	v_cmp_le_u32_e32 vcc_lo, s14, v1
	v_cndmask_b32_e32 v1, v1, v11, vcc_lo
	s_delay_alu instid0(VALU_DEP_1) | instskip(NEXT) | instid1(VALU_DEP_1)
	v_xor_b32_e32 v1, v1, v15
	v_sub_nc_u32_e32 v12, v1, v15
	s_delay_alu instid0(VALU_DEP_1)
	v_ashrrev_i32_e32 v13, 31, v12
	s_cbranch_scc0 .LBB29_9
; %bb.6:
	s_delay_alu instid0(VALU_DEP_1)
	v_mov_b64_e32 v[16:17], v[12:13]
	s_and_not1_b32 vcc_lo, exec_lo, s12
	s_cbranch_vccnz .LBB29_8
; %bb.7:
	s_wait_kmcnt 0x0
	v_mul_u64_e32 v[16:17], s[6:7], v[12:13]
.LBB29_8:
	s_mov_b32 s13, 0
.LBB29_9:
	s_delay_alu instid0(SALU_CYCLE_1)
	s_and_not1_b32 vcc_lo, exec_lo, s13
	s_cbranch_vccnz .LBB29_13
; %bb.10:
	s_and_not1_b32 vcc_lo, exec_lo, s8
	s_cbranch_vccnz .LBB29_12
; %bb.11:
	s_wait_kmcnt 0x0
	v_mul_u64_e32 v[12:13], s[6:7], v[12:13]
.LBB29_12:
	s_delay_alu instid0(VALU_DEP_1)
	v_mov_b64_e32 v[16:17], v[12:13]
.LBB29_13:
	s_cmp_eq_u32 s11, 1
	v_mov_b32_e32 v11, 0
	s_cselect_b32 s8, -1, 0
	s_cmp_eq_u32 s9, 0x6f
	s_cselect_b32 s10, -1, 0
	s_cmp_lg_u32 s9, 0x6f
	s_cselect_b32 s9, -1, 0
	s_cmp_lg_u32 s11, 1
	s_cbranch_scc0 .LBB29_17
; %bb.14:
	v_mov_b64_e32 v[18:19], v[10:11]
	s_and_not1_b32 vcc_lo, exec_lo, s9
	s_cbranch_vccnz .LBB29_16
; %bb.15:
	v_mul_u64_e32 v[18:19], s[4:5], v[10:11]
.LBB29_16:
	s_cbranch_execz .LBB29_18
	s_branch .LBB29_21
.LBB29_17:
                                        ; implicit-def: $vgpr18_vgpr19
.LBB29_18:
	s_and_not1_b32 vcc_lo, exec_lo, s10
	s_cbranch_vccnz .LBB29_20
; %bb.19:
	v_mul_u64_e32 v[10:11], s[4:5], v[10:11]
.LBB29_20:
	s_delay_alu instid0(VALU_DEP_1)
	v_mov_b64_e32 v[18:19], v[10:11]
.LBB29_21:
	s_cmp_lt_i32 s2, 1
	s_cbranch_scc1 .LBB29_24
; %bb.22:
	s_clause 0x1
	s_load_b64 s[14:15], s[0:1], 0x30
	s_load_b64 s[16:17], s[0:1], 0x40
	s_xor_b32 s3, s12, s3
	v_mov_b64_e32 v[12:13], 0
	s_and_b32 s3, s3, exec_lo
	s_wait_kmcnt 0x0
	s_cselect_b32 s7, 0, s7
	s_cselect_b32 s6, 1, s6
	s_xor_b32 s3, s10, s8
	s_delay_alu instid0(SALU_CYCLE_1)
	s_and_b32 s3, s3, exec_lo
	s_cselect_b32 s9, s5, 0
	s_cselect_b32 s8, s4, 1
	s_lshl_b64 s[4:5], s[6:7], 4
	s_lshl_b64 s[6:7], s[8:9], 4
	v_lshl_add_u64 v[10:11], v[16:17], 4, s[14:15]
	s_delay_alu instid0(VALU_DEP_3) | instskip(NEXT) | instid1(VALU_DEP_2)
	v_lshl_add_u64 v[18:19], v[18:19], 4, s[16:17]
	v_add_nc_u64_e32 v[16:17], 8, v[10:11]
	s_delay_alu instid0(VALU_DEP_2)
	v_add_nc_u64_e32 v[18:19], 8, v[18:19]
	v_mov_b64_e32 v[10:11], 0
.LBB29_23:                              ; =>This Inner Loop Header: Depth=1
	global_load_b128 v[20:23], v[18:19], off offset:-8
	global_load_b128 v[24:27], v[16:17], off offset:-8
	s_wait_xcnt 0x0
	v_add_nc_u64_e32 v[16:17], s[4:5], v[16:17]
	v_add_nc_u64_e32 v[18:19], s[6:7], v[18:19]
	s_add_co_i32 s2, s2, -1
	s_delay_alu instid0(SALU_CYCLE_1) | instskip(SKIP_3) | instid1(VALU_DEP_2)
	s_cmp_eq_u32 s2, 0
	s_wait_loadcnt 0x0
	v_mul_f64_e64 v[28:29], v[22:23], -v[26:27]
	v_mul_f64_e32 v[22:23], v[22:23], v[24:25]
	v_fmac_f64_e32 v[28:29], v[24:25], v[20:21]
	s_delay_alu instid0(VALU_DEP_2) | instskip(NEXT) | instid1(VALU_DEP_2)
	v_fmac_f64_e32 v[22:23], v[26:27], v[20:21]
	v_add_f64_e32 v[10:11], v[10:11], v[28:29]
	s_delay_alu instid0(VALU_DEP_2)
	v_add_f64_e32 v[12:13], v[12:13], v[22:23]
	s_cbranch_scc0 .LBB29_23
	s_branch .LBB29_25
.LBB29_24:
	v_mov_b64_e32 v[12:13], 0
	v_mov_b64_e32 v[10:11], 0
.LBB29_25:
	s_wait_xcnt 0x0
	s_load_b64 s[0:1], s[0:1], 0x60
	v_lshlrev_b32_e32 v0, 4, v0
	ds_store_b128 v0, v[10:13]
	s_wait_dscnt 0x0
	s_barrier_signal -1
	s_barrier_wait -1
	s_wait_kmcnt 0x0
	v_lshl_add_u64 v[18:19], v[14:15], 4, s[0:1]
	global_load_b128 v[10:13], v[18:19], off
	s_wait_loadcnt 0x0
	v_mul_f64_e64 v[20:21], v[8:9], -v[12:13]
	v_mul_f64_e32 v[8:9], v[8:9], v[10:11]
	ds_load_b128 v[14:17], v0
	s_wait_dscnt 0x0
	v_mul_f64_e64 v[0:1], v[16:17], -v[4:5]
	v_mul_f64_e32 v[16:17], v[2:3], v[16:17]
	v_fmac_f64_e32 v[20:21], v[10:11], v[6:7]
	v_fmac_f64_e32 v[8:9], v[12:13], v[6:7]
	s_delay_alu instid0(VALU_DEP_4) | instskip(NEXT) | instid1(VALU_DEP_4)
	v_fmac_f64_e32 v[0:1], v[2:3], v[14:15]
	v_fmac_f64_e32 v[16:17], v[4:5], v[14:15]
	s_delay_alu instid0(VALU_DEP_2) | instskip(NEXT) | instid1(VALU_DEP_2)
	v_add_f64_e32 v[0:1], v[20:21], v[0:1]
	v_add_f64_e32 v[2:3], v[8:9], v[16:17]
	global_store_b128 v[18:19], v[0:3], off
.LBB29_26:
	s_endpgm
	.section	.rodata,"a",@progbits
	.p2align	6, 0x0
	.amdhsa_kernel _ZN9rocsparseL16sddmm_ell_kernelILi512ELi1E21rocsparse_complex_numIdEiiS2_S2_S2_EEv20rocsparse_operation_S3_16rocsparse_order_S4_T3_S5_S5_T2_NS_24const_host_device_scalarIT1_EEPKT4_lPKT5_lS9_PT6_PKS5_21rocsparse_index_base_b
		.amdhsa_group_segment_fixed_size 8192
		.amdhsa_private_segment_fixed_size 0
		.amdhsa_kernarg_size 120
		.amdhsa_user_sgpr_count 2
		.amdhsa_user_sgpr_dispatch_ptr 0
		.amdhsa_user_sgpr_queue_ptr 0
		.amdhsa_user_sgpr_kernarg_segment_ptr 1
		.amdhsa_user_sgpr_dispatch_id 0
		.amdhsa_user_sgpr_kernarg_preload_length 0
		.amdhsa_user_sgpr_kernarg_preload_offset 0
		.amdhsa_user_sgpr_private_segment_size 0
		.amdhsa_wavefront_size32 1
		.amdhsa_uses_dynamic_stack 0
		.amdhsa_enable_private_segment 0
		.amdhsa_system_sgpr_workgroup_id_x 1
		.amdhsa_system_sgpr_workgroup_id_y 0
		.amdhsa_system_sgpr_workgroup_id_z 0
		.amdhsa_system_sgpr_workgroup_info 0
		.amdhsa_system_vgpr_workitem_id 0
		.amdhsa_next_free_vgpr 30
		.amdhsa_next_free_sgpr 18
		.amdhsa_named_barrier_count 0
		.amdhsa_reserve_vcc 1
		.amdhsa_float_round_mode_32 0
		.amdhsa_float_round_mode_16_64 0
		.amdhsa_float_denorm_mode_32 3
		.amdhsa_float_denorm_mode_16_64 3
		.amdhsa_fp16_overflow 0
		.amdhsa_memory_ordered 1
		.amdhsa_forward_progress 1
		.amdhsa_inst_pref_size 9
		.amdhsa_round_robin_scheduling 0
		.amdhsa_exception_fp_ieee_invalid_op 0
		.amdhsa_exception_fp_denorm_src 0
		.amdhsa_exception_fp_ieee_div_zero 0
		.amdhsa_exception_fp_ieee_overflow 0
		.amdhsa_exception_fp_ieee_underflow 0
		.amdhsa_exception_fp_ieee_inexact 0
		.amdhsa_exception_int_div_zero 0
	.end_amdhsa_kernel
	.section	.text._ZN9rocsparseL16sddmm_ell_kernelILi512ELi1E21rocsparse_complex_numIdEiiS2_S2_S2_EEv20rocsparse_operation_S3_16rocsparse_order_S4_T3_S5_S5_T2_NS_24const_host_device_scalarIT1_EEPKT4_lPKT5_lS9_PT6_PKS5_21rocsparse_index_base_b,"axG",@progbits,_ZN9rocsparseL16sddmm_ell_kernelILi512ELi1E21rocsparse_complex_numIdEiiS2_S2_S2_EEv20rocsparse_operation_S3_16rocsparse_order_S4_T3_S5_S5_T2_NS_24const_host_device_scalarIT1_EEPKT4_lPKT5_lS9_PT6_PKS5_21rocsparse_index_base_b,comdat
.Lfunc_end29:
	.size	_ZN9rocsparseL16sddmm_ell_kernelILi512ELi1E21rocsparse_complex_numIdEiiS2_S2_S2_EEv20rocsparse_operation_S3_16rocsparse_order_S4_T3_S5_S5_T2_NS_24const_host_device_scalarIT1_EEPKT4_lPKT5_lS9_PT6_PKS5_21rocsparse_index_base_b, .Lfunc_end29-_ZN9rocsparseL16sddmm_ell_kernelILi512ELi1E21rocsparse_complex_numIdEiiS2_S2_S2_EEv20rocsparse_operation_S3_16rocsparse_order_S4_T3_S5_S5_T2_NS_24const_host_device_scalarIT1_EEPKT4_lPKT5_lS9_PT6_PKS5_21rocsparse_index_base_b
                                        ; -- End function
	.set _ZN9rocsparseL16sddmm_ell_kernelILi512ELi1E21rocsparse_complex_numIdEiiS2_S2_S2_EEv20rocsparse_operation_S3_16rocsparse_order_S4_T3_S5_S5_T2_NS_24const_host_device_scalarIT1_EEPKT4_lPKT5_lS9_PT6_PKS5_21rocsparse_index_base_b.num_vgpr, 30
	.set _ZN9rocsparseL16sddmm_ell_kernelILi512ELi1E21rocsparse_complex_numIdEiiS2_S2_S2_EEv20rocsparse_operation_S3_16rocsparse_order_S4_T3_S5_S5_T2_NS_24const_host_device_scalarIT1_EEPKT4_lPKT5_lS9_PT6_PKS5_21rocsparse_index_base_b.num_agpr, 0
	.set _ZN9rocsparseL16sddmm_ell_kernelILi512ELi1E21rocsparse_complex_numIdEiiS2_S2_S2_EEv20rocsparse_operation_S3_16rocsparse_order_S4_T3_S5_S5_T2_NS_24const_host_device_scalarIT1_EEPKT4_lPKT5_lS9_PT6_PKS5_21rocsparse_index_base_b.numbered_sgpr, 18
	.set _ZN9rocsparseL16sddmm_ell_kernelILi512ELi1E21rocsparse_complex_numIdEiiS2_S2_S2_EEv20rocsparse_operation_S3_16rocsparse_order_S4_T3_S5_S5_T2_NS_24const_host_device_scalarIT1_EEPKT4_lPKT5_lS9_PT6_PKS5_21rocsparse_index_base_b.num_named_barrier, 0
	.set _ZN9rocsparseL16sddmm_ell_kernelILi512ELi1E21rocsparse_complex_numIdEiiS2_S2_S2_EEv20rocsparse_operation_S3_16rocsparse_order_S4_T3_S5_S5_T2_NS_24const_host_device_scalarIT1_EEPKT4_lPKT5_lS9_PT6_PKS5_21rocsparse_index_base_b.private_seg_size, 0
	.set _ZN9rocsparseL16sddmm_ell_kernelILi512ELi1E21rocsparse_complex_numIdEiiS2_S2_S2_EEv20rocsparse_operation_S3_16rocsparse_order_S4_T3_S5_S5_T2_NS_24const_host_device_scalarIT1_EEPKT4_lPKT5_lS9_PT6_PKS5_21rocsparse_index_base_b.uses_vcc, 1
	.set _ZN9rocsparseL16sddmm_ell_kernelILi512ELi1E21rocsparse_complex_numIdEiiS2_S2_S2_EEv20rocsparse_operation_S3_16rocsparse_order_S4_T3_S5_S5_T2_NS_24const_host_device_scalarIT1_EEPKT4_lPKT5_lS9_PT6_PKS5_21rocsparse_index_base_b.uses_flat_scratch, 0
	.set _ZN9rocsparseL16sddmm_ell_kernelILi512ELi1E21rocsparse_complex_numIdEiiS2_S2_S2_EEv20rocsparse_operation_S3_16rocsparse_order_S4_T3_S5_S5_T2_NS_24const_host_device_scalarIT1_EEPKT4_lPKT5_lS9_PT6_PKS5_21rocsparse_index_base_b.has_dyn_sized_stack, 0
	.set _ZN9rocsparseL16sddmm_ell_kernelILi512ELi1E21rocsparse_complex_numIdEiiS2_S2_S2_EEv20rocsparse_operation_S3_16rocsparse_order_S4_T3_S5_S5_T2_NS_24const_host_device_scalarIT1_EEPKT4_lPKT5_lS9_PT6_PKS5_21rocsparse_index_base_b.has_recursion, 0
	.set _ZN9rocsparseL16sddmm_ell_kernelILi512ELi1E21rocsparse_complex_numIdEiiS2_S2_S2_EEv20rocsparse_operation_S3_16rocsparse_order_S4_T3_S5_S5_T2_NS_24const_host_device_scalarIT1_EEPKT4_lPKT5_lS9_PT6_PKS5_21rocsparse_index_base_b.has_indirect_call, 0
	.section	.AMDGPU.csdata,"",@progbits
; Kernel info:
; codeLenInByte = 1048
; TotalNumSgprs: 20
; NumVgprs: 30
; ScratchSize: 0
; MemoryBound: 0
; FloatMode: 240
; IeeeMode: 1
; LDSByteSize: 8192 bytes/workgroup (compile time only)
; SGPRBlocks: 0
; VGPRBlocks: 1
; NumSGPRsForWavesPerEU: 20
; NumVGPRsForWavesPerEU: 30
; NamedBarCnt: 0
; Occupancy: 16
; WaveLimiterHint : 0
; COMPUTE_PGM_RSRC2:SCRATCH_EN: 0
; COMPUTE_PGM_RSRC2:USER_SGPR: 2
; COMPUTE_PGM_RSRC2:TRAP_HANDLER: 0
; COMPUTE_PGM_RSRC2:TGID_X_EN: 1
; COMPUTE_PGM_RSRC2:TGID_Y_EN: 0
; COMPUTE_PGM_RSRC2:TGID_Z_EN: 0
; COMPUTE_PGM_RSRC2:TIDIG_COMP_CNT: 0
	.section	.text._ZN9rocsparseL23sddmm_ell_sample_kernelILi16ELi32EDF16_lDF16_EEvT2_S1_PKT3_lS1_PS2_PKS1_21rocsparse_index_base_,"axG",@progbits,_ZN9rocsparseL23sddmm_ell_sample_kernelILi16ELi32EDF16_lDF16_EEvT2_S1_PKT3_lS1_PS2_PKS1_21rocsparse_index_base_,comdat
	.globl	_ZN9rocsparseL23sddmm_ell_sample_kernelILi16ELi32EDF16_lDF16_EEvT2_S1_PKT3_lS1_PS2_PKS1_21rocsparse_index_base_ ; -- Begin function _ZN9rocsparseL23sddmm_ell_sample_kernelILi16ELi32EDF16_lDF16_EEvT2_S1_PKT3_lS1_PS2_PKS1_21rocsparse_index_base_
	.p2align	8
	.type	_ZN9rocsparseL23sddmm_ell_sample_kernelILi16ELi32EDF16_lDF16_EEvT2_S1_PKT3_lS1_PS2_PKS1_21rocsparse_index_base_,@function
_ZN9rocsparseL23sddmm_ell_sample_kernelILi16ELi32EDF16_lDF16_EEvT2_S1_PKT3_lS1_PS2_PKS1_21rocsparse_index_base_: ; @_ZN9rocsparseL23sddmm_ell_sample_kernelILi16ELi32EDF16_lDF16_EEvT2_S1_PKT3_lS1_PS2_PKS1_21rocsparse_index_base_
; %bb.0:
	s_load_b128 s[8:11], s[0:1], 0x18
	s_bfe_u32 s2, ttmp6, 0x4000c
	s_and_b32 s3, ttmp6, 15
	s_add_co_i32 s2, s2, 1
	s_getreg_b32 s4, hwreg(HW_REG_IB_STS2, 6, 4)
	s_mul_i32 s2, ttmp9, s2
	v_dual_mov_b32 v1, 0 :: v_dual_lshrrev_b32 v2, 5, v0
	s_add_co_i32 s3, s3, s2
	s_cmp_eq_u32 s4, 0
	s_cselect_b32 s2, ttmp9, s3
	s_delay_alu instid0(VALU_DEP_1) | instskip(SKIP_3) | instid1(VALU_DEP_1)
	v_mov_b32_e32 v3, v1
	v_lshl_or_b32 v2, s2, 4, v2
	s_mov_b32 s2, exec_lo
	s_wait_kmcnt 0x0
	v_cmpx_gt_i64_e64 s[10:11], v[2:3]
	s_cbranch_execz .LBB30_6
; %bb.1:
	s_load_b128 s[4:7], s[0:1], 0x0
	v_and_b32_e32 v0, 31, v0
	s_wait_kmcnt 0x0
	s_delay_alu instid0(VALU_DEP_1)
	v_cmp_gt_i64_e32 vcc_lo, s[4:5], v[0:1]
	s_and_b32 exec_lo, exec_lo, vcc_lo
	s_cbranch_execz .LBB30_6
; %bb.2:
	v_mad_nc_u64_u32 v[6:7], s4, v2, v[0:1]
	s_clause 0x2
	s_load_b64 s[10:11], s[0:1], 0x10
	s_load_b128 s[12:15], s[0:1], 0x28
	s_load_b32 s2, s[0:1], 0x38
	s_mov_b32 s3, 0
	s_lshl_b64 s[8:9], s[8:9], 1
	s_wait_xcnt 0x0
	s_mov_b32 s1, s3
	v_mov_b32_e32 v3, 0
	s_delay_alu instid0(VALU_DEP_2) | instskip(SKIP_2) | instid1(VALU_DEP_1)
	v_mad_u32 v7, s5, v2, v7
	v_lshlrev_b32_e32 v2, 1, v0
	s_wait_kmcnt 0x0
	v_add_nc_u64_e32 v[2:3], s[10:11], v[2:3]
	s_delay_alu instid0(VALU_DEP_3)
	v_lshl_add_u64 v[4:5], v[6:7], 3, s[14:15]
	v_lshl_add_u64 v[6:7], v[6:7], 1, s[12:13]
	s_branch .LBB30_4
.LBB30_3:                               ;   in Loop: Header=BB30_4 Depth=1
	s_wait_xcnt 0x0
	s_or_b32 exec_lo, exec_lo, s0
	v_add_nc_u64_e32 v[0:1], 32, v[0:1]
	v_add_nc_u64_e32 v[4:5], 0x100, v[4:5]
	;; [unrolled: 1-line block ×4, first 2 shown]
	s_delay_alu instid0(VALU_DEP_4) | instskip(SKIP_1) | instid1(SALU_CYCLE_1)
	v_cmp_le_i64_e32 vcc_lo, s[4:5], v[0:1]
	s_or_b32 s1, vcc_lo, s1
	s_and_not1_b32 exec_lo, exec_lo, s1
	s_cbranch_execz .LBB30_6
.LBB30_4:                               ; =>This Inner Loop Header: Depth=1
	global_load_b64 v[8:9], v[4:5], off
	s_wait_loadcnt 0x0
	v_sub_nc_u64_e64 v[8:9], v[8:9], s[2:3]
	s_delay_alu instid0(VALU_DEP_1)
	v_cmp_lt_i64_e32 vcc_lo, -1, v[8:9]
	v_cmp_gt_i64_e64 s0, s[6:7], v[8:9]
	s_and_b32 s10, vcc_lo, s0
	s_wait_xcnt 0x0
	s_and_saveexec_b32 s0, s10
	s_cbranch_execz .LBB30_3
; %bb.5:                                ;   in Loop: Header=BB30_4 Depth=1
	v_mad_nc_u64_u32 v[10:11], s8, v8, v[2:3]
	s_delay_alu instid0(VALU_DEP_1) | instskip(NEXT) | instid1(VALU_DEP_1)
	v_mad_u32 v8, s9, v8, v11
	v_mad_u32 v11, s8, v9, v8
	global_load_u16 v8, v[10:11], off
	s_wait_loadcnt 0x0
	global_store_b16 v[6:7], v8, off
	s_branch .LBB30_3
.LBB30_6:
	s_endpgm
	.section	.rodata,"a",@progbits
	.p2align	6, 0x0
	.amdhsa_kernel _ZN9rocsparseL23sddmm_ell_sample_kernelILi16ELi32EDF16_lDF16_EEvT2_S1_PKT3_lS1_PS2_PKS1_21rocsparse_index_base_
		.amdhsa_group_segment_fixed_size 0
		.amdhsa_private_segment_fixed_size 0
		.amdhsa_kernarg_size 60
		.amdhsa_user_sgpr_count 2
		.amdhsa_user_sgpr_dispatch_ptr 0
		.amdhsa_user_sgpr_queue_ptr 0
		.amdhsa_user_sgpr_kernarg_segment_ptr 1
		.amdhsa_user_sgpr_dispatch_id 0
		.amdhsa_user_sgpr_kernarg_preload_length 0
		.amdhsa_user_sgpr_kernarg_preload_offset 0
		.amdhsa_user_sgpr_private_segment_size 0
		.amdhsa_wavefront_size32 1
		.amdhsa_uses_dynamic_stack 0
		.amdhsa_enable_private_segment 0
		.amdhsa_system_sgpr_workgroup_id_x 1
		.amdhsa_system_sgpr_workgroup_id_y 0
		.amdhsa_system_sgpr_workgroup_id_z 0
		.amdhsa_system_sgpr_workgroup_info 0
		.amdhsa_system_vgpr_workitem_id 0
		.amdhsa_next_free_vgpr 12
		.amdhsa_next_free_sgpr 16
		.amdhsa_named_barrier_count 0
		.amdhsa_reserve_vcc 1
		.amdhsa_float_round_mode_32 0
		.amdhsa_float_round_mode_16_64 0
		.amdhsa_float_denorm_mode_32 3
		.amdhsa_float_denorm_mode_16_64 3
		.amdhsa_fp16_overflow 0
		.amdhsa_memory_ordered 1
		.amdhsa_forward_progress 1
		.amdhsa_inst_pref_size 4
		.amdhsa_round_robin_scheduling 0
		.amdhsa_exception_fp_ieee_invalid_op 0
		.amdhsa_exception_fp_denorm_src 0
		.amdhsa_exception_fp_ieee_div_zero 0
		.amdhsa_exception_fp_ieee_overflow 0
		.amdhsa_exception_fp_ieee_underflow 0
		.amdhsa_exception_fp_ieee_inexact 0
		.amdhsa_exception_int_div_zero 0
	.end_amdhsa_kernel
	.section	.text._ZN9rocsparseL23sddmm_ell_sample_kernelILi16ELi32EDF16_lDF16_EEvT2_S1_PKT3_lS1_PS2_PKS1_21rocsparse_index_base_,"axG",@progbits,_ZN9rocsparseL23sddmm_ell_sample_kernelILi16ELi32EDF16_lDF16_EEvT2_S1_PKT3_lS1_PS2_PKS1_21rocsparse_index_base_,comdat
.Lfunc_end30:
	.size	_ZN9rocsparseL23sddmm_ell_sample_kernelILi16ELi32EDF16_lDF16_EEvT2_S1_PKT3_lS1_PS2_PKS1_21rocsparse_index_base_, .Lfunc_end30-_ZN9rocsparseL23sddmm_ell_sample_kernelILi16ELi32EDF16_lDF16_EEvT2_S1_PKT3_lS1_PS2_PKS1_21rocsparse_index_base_
                                        ; -- End function
	.set _ZN9rocsparseL23sddmm_ell_sample_kernelILi16ELi32EDF16_lDF16_EEvT2_S1_PKT3_lS1_PS2_PKS1_21rocsparse_index_base_.num_vgpr, 12
	.set _ZN9rocsparseL23sddmm_ell_sample_kernelILi16ELi32EDF16_lDF16_EEvT2_S1_PKT3_lS1_PS2_PKS1_21rocsparse_index_base_.num_agpr, 0
	.set _ZN9rocsparseL23sddmm_ell_sample_kernelILi16ELi32EDF16_lDF16_EEvT2_S1_PKT3_lS1_PS2_PKS1_21rocsparse_index_base_.numbered_sgpr, 16
	.set _ZN9rocsparseL23sddmm_ell_sample_kernelILi16ELi32EDF16_lDF16_EEvT2_S1_PKT3_lS1_PS2_PKS1_21rocsparse_index_base_.num_named_barrier, 0
	.set _ZN9rocsparseL23sddmm_ell_sample_kernelILi16ELi32EDF16_lDF16_EEvT2_S1_PKT3_lS1_PS2_PKS1_21rocsparse_index_base_.private_seg_size, 0
	.set _ZN9rocsparseL23sddmm_ell_sample_kernelILi16ELi32EDF16_lDF16_EEvT2_S1_PKT3_lS1_PS2_PKS1_21rocsparse_index_base_.uses_vcc, 1
	.set _ZN9rocsparseL23sddmm_ell_sample_kernelILi16ELi32EDF16_lDF16_EEvT2_S1_PKT3_lS1_PS2_PKS1_21rocsparse_index_base_.uses_flat_scratch, 0
	.set _ZN9rocsparseL23sddmm_ell_sample_kernelILi16ELi32EDF16_lDF16_EEvT2_S1_PKT3_lS1_PS2_PKS1_21rocsparse_index_base_.has_dyn_sized_stack, 0
	.set _ZN9rocsparseL23sddmm_ell_sample_kernelILi16ELi32EDF16_lDF16_EEvT2_S1_PKT3_lS1_PS2_PKS1_21rocsparse_index_base_.has_recursion, 0
	.set _ZN9rocsparseL23sddmm_ell_sample_kernelILi16ELi32EDF16_lDF16_EEvT2_S1_PKT3_lS1_PS2_PKS1_21rocsparse_index_base_.has_indirect_call, 0
	.section	.AMDGPU.csdata,"",@progbits
; Kernel info:
; codeLenInByte = 392
; TotalNumSgprs: 18
; NumVgprs: 12
; ScratchSize: 0
; MemoryBound: 0
; FloatMode: 240
; IeeeMode: 1
; LDSByteSize: 0 bytes/workgroup (compile time only)
; SGPRBlocks: 0
; VGPRBlocks: 0
; NumSGPRsForWavesPerEU: 18
; NumVGPRsForWavesPerEU: 12
; NamedBarCnt: 0
; Occupancy: 16
; WaveLimiterHint : 1
; COMPUTE_PGM_RSRC2:SCRATCH_EN: 0
; COMPUTE_PGM_RSRC2:USER_SGPR: 2
; COMPUTE_PGM_RSRC2:TRAP_HANDLER: 0
; COMPUTE_PGM_RSRC2:TGID_X_EN: 1
; COMPUTE_PGM_RSRC2:TGID_Y_EN: 0
; COMPUTE_PGM_RSRC2:TGID_Z_EN: 0
; COMPUTE_PGM_RSRC2:TIDIG_COMP_CNT: 0
	.section	.text._ZN9rocsparseL23sddmm_ell_sample_kernelILi16ELi64EDF16_lDF16_EEvT2_S1_PKT3_lS1_PS2_PKS1_21rocsparse_index_base_,"axG",@progbits,_ZN9rocsparseL23sddmm_ell_sample_kernelILi16ELi64EDF16_lDF16_EEvT2_S1_PKT3_lS1_PS2_PKS1_21rocsparse_index_base_,comdat
	.globl	_ZN9rocsparseL23sddmm_ell_sample_kernelILi16ELi64EDF16_lDF16_EEvT2_S1_PKT3_lS1_PS2_PKS1_21rocsparse_index_base_ ; -- Begin function _ZN9rocsparseL23sddmm_ell_sample_kernelILi16ELi64EDF16_lDF16_EEvT2_S1_PKT3_lS1_PS2_PKS1_21rocsparse_index_base_
	.p2align	8
	.type	_ZN9rocsparseL23sddmm_ell_sample_kernelILi16ELi64EDF16_lDF16_EEvT2_S1_PKT3_lS1_PS2_PKS1_21rocsparse_index_base_,@function
_ZN9rocsparseL23sddmm_ell_sample_kernelILi16ELi64EDF16_lDF16_EEvT2_S1_PKT3_lS1_PS2_PKS1_21rocsparse_index_base_: ; @_ZN9rocsparseL23sddmm_ell_sample_kernelILi16ELi64EDF16_lDF16_EEvT2_S1_PKT3_lS1_PS2_PKS1_21rocsparse_index_base_
; %bb.0:
	s_load_b128 s[8:11], s[0:1], 0x18
	s_bfe_u32 s2, ttmp6, 0x4000c
	s_and_b32 s3, ttmp6, 15
	s_add_co_i32 s2, s2, 1
	s_getreg_b32 s4, hwreg(HW_REG_IB_STS2, 6, 4)
	s_mul_i32 s2, ttmp9, s2
	v_dual_mov_b32 v1, 0 :: v_dual_lshrrev_b32 v2, 6, v0
	s_add_co_i32 s3, s3, s2
	s_cmp_eq_u32 s4, 0
	s_cselect_b32 s2, ttmp9, s3
	s_delay_alu instid0(VALU_DEP_1) | instskip(SKIP_3) | instid1(VALU_DEP_1)
	v_mov_b32_e32 v3, v1
	v_lshl_or_b32 v2, s2, 4, v2
	s_mov_b32 s2, exec_lo
	s_wait_kmcnt 0x0
	v_cmpx_gt_i64_e64 s[10:11], v[2:3]
	s_cbranch_execz .LBB31_6
; %bb.1:
	s_load_b128 s[4:7], s[0:1], 0x0
	v_and_b32_e32 v0, 63, v0
	s_wait_kmcnt 0x0
	s_delay_alu instid0(VALU_DEP_1)
	v_cmp_gt_i64_e32 vcc_lo, s[4:5], v[0:1]
	s_and_b32 exec_lo, exec_lo, vcc_lo
	s_cbranch_execz .LBB31_6
; %bb.2:
	v_mad_nc_u64_u32 v[6:7], s4, v2, v[0:1]
	s_clause 0x2
	s_load_b64 s[10:11], s[0:1], 0x10
	s_load_b128 s[12:15], s[0:1], 0x28
	s_load_b32 s2, s[0:1], 0x38
	s_mov_b32 s3, 0
	s_lshl_b64 s[8:9], s[8:9], 1
	s_wait_xcnt 0x0
	s_mov_b32 s1, s3
	v_mov_b32_e32 v3, 0
	s_delay_alu instid0(VALU_DEP_2) | instskip(SKIP_2) | instid1(VALU_DEP_1)
	v_mad_u32 v7, s5, v2, v7
	v_lshlrev_b32_e32 v2, 1, v0
	s_wait_kmcnt 0x0
	v_add_nc_u64_e32 v[2:3], s[10:11], v[2:3]
	s_delay_alu instid0(VALU_DEP_3)
	v_lshl_add_u64 v[4:5], v[6:7], 3, s[14:15]
	v_lshl_add_u64 v[6:7], v[6:7], 1, s[12:13]
	s_branch .LBB31_4
.LBB31_3:                               ;   in Loop: Header=BB31_4 Depth=1
	s_wait_xcnt 0x0
	s_or_b32 exec_lo, exec_lo, s0
	v_add_nc_u64_e32 v[0:1], 64, v[0:1]
	v_add_nc_u64_e32 v[4:5], 0x200, v[4:5]
	;; [unrolled: 1-line block ×4, first 2 shown]
	s_delay_alu instid0(VALU_DEP_4) | instskip(SKIP_1) | instid1(SALU_CYCLE_1)
	v_cmp_le_i64_e32 vcc_lo, s[4:5], v[0:1]
	s_or_b32 s1, vcc_lo, s1
	s_and_not1_b32 exec_lo, exec_lo, s1
	s_cbranch_execz .LBB31_6
.LBB31_4:                               ; =>This Inner Loop Header: Depth=1
	global_load_b64 v[8:9], v[4:5], off
	s_wait_loadcnt 0x0
	v_sub_nc_u64_e64 v[8:9], v[8:9], s[2:3]
	s_delay_alu instid0(VALU_DEP_1)
	v_cmp_lt_i64_e32 vcc_lo, -1, v[8:9]
	v_cmp_gt_i64_e64 s0, s[6:7], v[8:9]
	s_and_b32 s10, vcc_lo, s0
	s_wait_xcnt 0x0
	s_and_saveexec_b32 s0, s10
	s_cbranch_execz .LBB31_3
; %bb.5:                                ;   in Loop: Header=BB31_4 Depth=1
	v_mad_nc_u64_u32 v[10:11], s8, v8, v[2:3]
	s_delay_alu instid0(VALU_DEP_1) | instskip(NEXT) | instid1(VALU_DEP_1)
	v_mad_u32 v8, s9, v8, v11
	v_mad_u32 v11, s8, v9, v8
	global_load_u16 v8, v[10:11], off
	s_wait_loadcnt 0x0
	global_store_b16 v[6:7], v8, off
	s_branch .LBB31_3
.LBB31_6:
	s_endpgm
	.section	.rodata,"a",@progbits
	.p2align	6, 0x0
	.amdhsa_kernel _ZN9rocsparseL23sddmm_ell_sample_kernelILi16ELi64EDF16_lDF16_EEvT2_S1_PKT3_lS1_PS2_PKS1_21rocsparse_index_base_
		.amdhsa_group_segment_fixed_size 0
		.amdhsa_private_segment_fixed_size 0
		.amdhsa_kernarg_size 60
		.amdhsa_user_sgpr_count 2
		.amdhsa_user_sgpr_dispatch_ptr 0
		.amdhsa_user_sgpr_queue_ptr 0
		.amdhsa_user_sgpr_kernarg_segment_ptr 1
		.amdhsa_user_sgpr_dispatch_id 0
		.amdhsa_user_sgpr_kernarg_preload_length 0
		.amdhsa_user_sgpr_kernarg_preload_offset 0
		.amdhsa_user_sgpr_private_segment_size 0
		.amdhsa_wavefront_size32 1
		.amdhsa_uses_dynamic_stack 0
		.amdhsa_enable_private_segment 0
		.amdhsa_system_sgpr_workgroup_id_x 1
		.amdhsa_system_sgpr_workgroup_id_y 0
		.amdhsa_system_sgpr_workgroup_id_z 0
		.amdhsa_system_sgpr_workgroup_info 0
		.amdhsa_system_vgpr_workitem_id 0
		.amdhsa_next_free_vgpr 12
		.amdhsa_next_free_sgpr 16
		.amdhsa_named_barrier_count 0
		.amdhsa_reserve_vcc 1
		.amdhsa_float_round_mode_32 0
		.amdhsa_float_round_mode_16_64 0
		.amdhsa_float_denorm_mode_32 3
		.amdhsa_float_denorm_mode_16_64 3
		.amdhsa_fp16_overflow 0
		.amdhsa_memory_ordered 1
		.amdhsa_forward_progress 1
		.amdhsa_inst_pref_size 4
		.amdhsa_round_robin_scheduling 0
		.amdhsa_exception_fp_ieee_invalid_op 0
		.amdhsa_exception_fp_denorm_src 0
		.amdhsa_exception_fp_ieee_div_zero 0
		.amdhsa_exception_fp_ieee_overflow 0
		.amdhsa_exception_fp_ieee_underflow 0
		.amdhsa_exception_fp_ieee_inexact 0
		.amdhsa_exception_int_div_zero 0
	.end_amdhsa_kernel
	.section	.text._ZN9rocsparseL23sddmm_ell_sample_kernelILi16ELi64EDF16_lDF16_EEvT2_S1_PKT3_lS1_PS2_PKS1_21rocsparse_index_base_,"axG",@progbits,_ZN9rocsparseL23sddmm_ell_sample_kernelILi16ELi64EDF16_lDF16_EEvT2_S1_PKT3_lS1_PS2_PKS1_21rocsparse_index_base_,comdat
.Lfunc_end31:
	.size	_ZN9rocsparseL23sddmm_ell_sample_kernelILi16ELi64EDF16_lDF16_EEvT2_S1_PKT3_lS1_PS2_PKS1_21rocsparse_index_base_, .Lfunc_end31-_ZN9rocsparseL23sddmm_ell_sample_kernelILi16ELi64EDF16_lDF16_EEvT2_S1_PKT3_lS1_PS2_PKS1_21rocsparse_index_base_
                                        ; -- End function
	.set _ZN9rocsparseL23sddmm_ell_sample_kernelILi16ELi64EDF16_lDF16_EEvT2_S1_PKT3_lS1_PS2_PKS1_21rocsparse_index_base_.num_vgpr, 12
	.set _ZN9rocsparseL23sddmm_ell_sample_kernelILi16ELi64EDF16_lDF16_EEvT2_S1_PKT3_lS1_PS2_PKS1_21rocsparse_index_base_.num_agpr, 0
	.set _ZN9rocsparseL23sddmm_ell_sample_kernelILi16ELi64EDF16_lDF16_EEvT2_S1_PKT3_lS1_PS2_PKS1_21rocsparse_index_base_.numbered_sgpr, 16
	.set _ZN9rocsparseL23sddmm_ell_sample_kernelILi16ELi64EDF16_lDF16_EEvT2_S1_PKT3_lS1_PS2_PKS1_21rocsparse_index_base_.num_named_barrier, 0
	.set _ZN9rocsparseL23sddmm_ell_sample_kernelILi16ELi64EDF16_lDF16_EEvT2_S1_PKT3_lS1_PS2_PKS1_21rocsparse_index_base_.private_seg_size, 0
	.set _ZN9rocsparseL23sddmm_ell_sample_kernelILi16ELi64EDF16_lDF16_EEvT2_S1_PKT3_lS1_PS2_PKS1_21rocsparse_index_base_.uses_vcc, 1
	.set _ZN9rocsparseL23sddmm_ell_sample_kernelILi16ELi64EDF16_lDF16_EEvT2_S1_PKT3_lS1_PS2_PKS1_21rocsparse_index_base_.uses_flat_scratch, 0
	.set _ZN9rocsparseL23sddmm_ell_sample_kernelILi16ELi64EDF16_lDF16_EEvT2_S1_PKT3_lS1_PS2_PKS1_21rocsparse_index_base_.has_dyn_sized_stack, 0
	.set _ZN9rocsparseL23sddmm_ell_sample_kernelILi16ELi64EDF16_lDF16_EEvT2_S1_PKT3_lS1_PS2_PKS1_21rocsparse_index_base_.has_recursion, 0
	.set _ZN9rocsparseL23sddmm_ell_sample_kernelILi16ELi64EDF16_lDF16_EEvT2_S1_PKT3_lS1_PS2_PKS1_21rocsparse_index_base_.has_indirect_call, 0
	.section	.AMDGPU.csdata,"",@progbits
; Kernel info:
; codeLenInByte = 400
; TotalNumSgprs: 18
; NumVgprs: 12
; ScratchSize: 0
; MemoryBound: 0
; FloatMode: 240
; IeeeMode: 1
; LDSByteSize: 0 bytes/workgroup (compile time only)
; SGPRBlocks: 0
; VGPRBlocks: 0
; NumSGPRsForWavesPerEU: 18
; NumVGPRsForWavesPerEU: 12
; NamedBarCnt: 0
; Occupancy: 16
; WaveLimiterHint : 1
; COMPUTE_PGM_RSRC2:SCRATCH_EN: 0
; COMPUTE_PGM_RSRC2:USER_SGPR: 2
; COMPUTE_PGM_RSRC2:TRAP_HANDLER: 0
; COMPUTE_PGM_RSRC2:TGID_X_EN: 1
; COMPUTE_PGM_RSRC2:TGID_Y_EN: 0
; COMPUTE_PGM_RSRC2:TGID_Z_EN: 0
; COMPUTE_PGM_RSRC2:TIDIG_COMP_CNT: 0
	.section	.text._ZN9rocsparseL16sddmm_ell_kernelILi512ELi8EDF16_llDF16_DF16_DF16_EEv20rocsparse_operation_S1_16rocsparse_order_S2_T3_S3_S3_T2_NS_24const_host_device_scalarIT1_EEPKT4_lPKT5_lS7_PT6_PKS3_21rocsparse_index_base_b,"axG",@progbits,_ZN9rocsparseL16sddmm_ell_kernelILi512ELi8EDF16_llDF16_DF16_DF16_EEv20rocsparse_operation_S1_16rocsparse_order_S2_T3_S3_S3_T2_NS_24const_host_device_scalarIT1_EEPKT4_lPKT5_lS7_PT6_PKS3_21rocsparse_index_base_b,comdat
	.globl	_ZN9rocsparseL16sddmm_ell_kernelILi512ELi8EDF16_llDF16_DF16_DF16_EEv20rocsparse_operation_S1_16rocsparse_order_S2_T3_S3_S3_T2_NS_24const_host_device_scalarIT1_EEPKT4_lPKT5_lS7_PT6_PKS3_21rocsparse_index_base_b ; -- Begin function _ZN9rocsparseL16sddmm_ell_kernelILi512ELi8EDF16_llDF16_DF16_DF16_EEv20rocsparse_operation_S1_16rocsparse_order_S2_T3_S3_S3_T2_NS_24const_host_device_scalarIT1_EEPKT4_lPKT5_lS7_PT6_PKS3_21rocsparse_index_base_b
	.p2align	8
	.type	_ZN9rocsparseL16sddmm_ell_kernelILi512ELi8EDF16_llDF16_DF16_DF16_EEv20rocsparse_operation_S1_16rocsparse_order_S2_T3_S3_S3_T2_NS_24const_host_device_scalarIT1_EEPKT4_lPKT5_lS7_PT6_PKS3_21rocsparse_index_base_b,@function
_ZN9rocsparseL16sddmm_ell_kernelILi512ELi8EDF16_llDF16_DF16_DF16_EEv20rocsparse_operation_S1_16rocsparse_order_S2_T3_S3_S3_T2_NS_24const_host_device_scalarIT1_EEPKT4_lPKT5_lS7_PT6_PKS3_21rocsparse_index_base_b: ; @_ZN9rocsparseL16sddmm_ell_kernelILi512ELi8EDF16_llDF16_DF16_DF16_EEv20rocsparse_operation_S1_16rocsparse_order_S2_T3_S3_S3_T2_NS_24const_host_device_scalarIT1_EEPKT4_lPKT5_lS7_PT6_PKS3_21rocsparse_index_base_b
; %bb.0:
	s_clause 0x2
	s_load_b64 s[12:13], s[0:1], 0x70
	s_load_b64 s[2:3], s[0:1], 0x30
	s_load_b128 s[8:11], s[0:1], 0x50
	s_wait_kmcnt 0x0
	s_bitcmp1_b32 s13, 0
	v_mov_b32_e32 v10, s2
	s_cselect_b32 s4, -1, 0
	s_delay_alu instid0(SALU_CYCLE_1)
	s_and_b32 vcc_lo, exec_lo, s4
	s_xor_b32 s4, s4, -1
	s_cbranch_vccnz .LBB32_2
; %bb.1:
	v_mov_b32_e32 v1, 0
	global_load_u16 v10, v1, s[2:3]
.LBB32_2:
	v_mov_b32_e32 v11, s10
	s_and_not1_b32 vcc_lo, exec_lo, s4
	s_cbranch_vccnz .LBB32_4
; %bb.3:
	s_wait_xcnt 0x0
	v_mov_b32_e32 v1, 0
	global_load_u16 v11, v1, s[10:11]
.LBB32_4:
	s_wait_loadcnt 0x0
	v_cmp_eq_f16_e32 vcc_lo, 0, v10
	v_cmp_eq_f16_e64 s2, 1.0, v11
	s_and_b32 s2, vcc_lo, s2
	s_delay_alu instid0(SALU_CYCLE_1)
	s_and_b32 vcc_lo, exec_lo, s2
	s_cbranch_vccnz .LBB32_39
; %bb.5:
	s_load_b128 s[4:7], s[0:1], 0x20
	s_bfe_u32 s2, ttmp6, 0x4000c
	s_and_b32 s3, ttmp6, 15
	s_add_co_i32 s2, s2, 1
	s_getreg_b32 s10, hwreg(HW_REG_IB_STS2, 6, 4)
	s_mul_i32 s2, ttmp9, s2
	v_dual_mov_b32 v3, 0 :: v_dual_lshrrev_b32 v12, 3, v0
	s_add_co_i32 s3, s3, s2
	s_cmp_eq_u32 s10, 0
	s_cselect_b32 s2, ttmp9, s3
	s_delay_alu instid0(VALU_DEP_1) | instid1(SALU_CYCLE_1)
	v_lshl_or_b32 v2, s2, 6, v12
	s_mov_b32 s2, exec_lo
	s_wait_kmcnt 0x0
	s_delay_alu instid0(VALU_DEP_1)
	v_cmpx_gt_i64_e64 s[6:7], v[2:3]
	s_cbranch_execz .LBB32_39
; %bb.6:
	s_load_b64 s[6:7], s[0:1], 0x10
                                        ; implicit-def: $vgpr8_vgpr9
	s_wait_kmcnt 0x0
	s_and_b64 s[2:3], s[6:7], 0xffffffff00000000
	s_delay_alu instid0(SALU_CYCLE_1) | instskip(SKIP_1) | instid1(SALU_CYCLE_1)
	s_cmp_lg_u64 s[2:3], 0
	s_cselect_b32 s2, -1, 0
	s_and_saveexec_b32 s3, s2
	s_delay_alu instid0(SALU_CYCLE_1)
	s_xor_b32 s3, exec_lo, s3
	s_cbranch_execz .LBB32_8
; %bb.7:
	s_ashr_i32 s10, s7, 31
	s_mov_b32 s21, 0
	s_mov_b32 s11, s10
	v_add_nc_u64_e32 v[4:5], 0, v[2:3]
	s_add_nc_u64 s[14:15], s[6:7], s[10:11]
	v_mov_b32_e32 v7, 0
	s_xor_b64 s[10:11], s[14:15], s[10:11]
	s_delay_alu instid0(SALU_CYCLE_1) | instskip(SKIP_3) | instid1(SALU_CYCLE_1)
	s_cvt_f32_u32 s2, s10
	s_cvt_f32_u32 s7, s11
	s_sub_nc_u64 s[16:17], 0, s[10:11]
	v_mov_b32_e32 v6, v4
	s_fmamk_f32 s2, s7, 0x4f800000, s2
	s_delay_alu instid0(SALU_CYCLE_3) | instskip(NEXT) | instid1(TRANS32_DEP_1)
	v_s_rcp_f32 s2, s2
	s_mul_f32 s2, s2, 0x5f7ffffc
	s_delay_alu instid0(SALU_CYCLE_3) | instskip(NEXT) | instid1(SALU_CYCLE_3)
	s_mul_f32 s7, s2, 0x2f800000
	s_trunc_f32 s7, s7
	s_delay_alu instid0(SALU_CYCLE_3) | instskip(SKIP_1) | instid1(SALU_CYCLE_2)
	s_fmamk_f32 s2, s7, 0xcf800000, s2
	s_cvt_u32_f32 s15, s7
	s_cvt_u32_f32 s14, s2
	s_delay_alu instid0(SALU_CYCLE_3) | instskip(NEXT) | instid1(SALU_CYCLE_1)
	s_mul_u64 s[18:19], s[16:17], s[14:15]
	s_mul_hi_u32 s23, s14, s19
	s_mul_i32 s22, s14, s19
	s_mul_hi_u32 s20, s14, s18
	s_mul_i32 s7, s15, s18
	s_add_nc_u64 s[22:23], s[20:21], s[22:23]
	s_mul_hi_u32 s2, s15, s18
	s_mul_hi_u32 s13, s15, s19
	s_add_co_u32 s7, s22, s7
	s_add_co_ci_u32 s20, s23, s2
	s_mul_i32 s18, s15, s19
	s_add_co_ci_u32 s19, s13, 0
	s_delay_alu instid0(SALU_CYCLE_1) | instskip(NEXT) | instid1(SALU_CYCLE_1)
	s_add_nc_u64 s[18:19], s[20:21], s[18:19]
	s_add_co_u32 s14, s14, s18
	s_cselect_b32 s2, -1, 0
	s_delay_alu instid0(SALU_CYCLE_1) | instskip(SKIP_1) | instid1(SALU_CYCLE_1)
	s_cmp_lg_u32 s2, 0
	s_add_co_ci_u32 s15, s15, s19
	s_mul_u64 s[16:17], s[16:17], s[14:15]
	s_delay_alu instid0(SALU_CYCLE_1)
	s_mul_hi_u32 s19, s14, s17
	s_mul_i32 s18, s14, s17
	s_mul_hi_u32 s20, s14, s16
	s_mul_i32 s7, s15, s16
	s_add_nc_u64 s[18:19], s[20:21], s[18:19]
	s_mul_hi_u32 s2, s15, s16
	s_mul_hi_u32 s13, s15, s17
	s_add_co_u32 s7, s18, s7
	s_add_co_ci_u32 s20, s19, s2
	s_mul_i32 s16, s15, s17
	s_add_co_ci_u32 s17, s13, 0
	s_delay_alu instid0(SALU_CYCLE_1) | instskip(NEXT) | instid1(SALU_CYCLE_1)
	s_add_nc_u64 s[16:17], s[20:21], s[16:17]
	s_add_co_u32 s2, s14, s16
	s_cselect_b32 s7, -1, 0
	s_delay_alu instid0(SALU_CYCLE_1)
	s_cmp_lg_u32 s7, 0
	s_add_co_ci_u32 s20, s15, s17
	s_mov_b64 s[14:15], 0xffffffff
	v_mul_u64_e32 v[8:9], s[20:21], v[6:7]
	v_mul_hi_u32 v6, v4, s2
	s_and_b64 s[14:15], s[2:3], s[14:15]
	s_delay_alu instid0(VALU_DEP_1) | instskip(SKIP_1) | instid1(VALU_DEP_1)
	v_add_nc_u64_e32 v[8:9], v[6:7], v[8:9]
	v_mov_b32_e32 v6, v5
	v_mul_u64_e32 v[14:15], s[14:15], v[6:7]
	v_mul_u64_e32 v[16:17], s[20:21], v[6:7]
	s_delay_alu instid0(VALU_DEP_2) | instskip(NEXT) | instid1(VALU_DEP_3)
	v_add_co_u32 v1, vcc_lo, v8, v14
	v_add_co_ci_u32_e32 v6, vcc_lo, v9, v15, vcc_lo
	s_delay_alu instid0(VALU_DEP_3) | instskip(NEXT) | instid1(VALU_DEP_1)
	v_add_co_ci_u32_e32 v17, vcc_lo, 0, v17, vcc_lo
	v_add_nc_u64_e32 v[6:7], v[6:7], v[16:17]
	s_delay_alu instid0(VALU_DEP_1) | instskip(NEXT) | instid1(VALU_DEP_1)
	v_mul_u64_e32 v[6:7], s[10:11], v[6:7]
	v_sub_nc_u32_e32 v1, v5, v7
	s_delay_alu instid0(VALU_DEP_2) | instskip(NEXT) | instid1(VALU_DEP_1)
	v_sub_co_u32 v4, vcc_lo, v4, v6
	v_sub_co_ci_u32_e64 v5, null, v5, v7, vcc_lo
	s_delay_alu instid0(VALU_DEP_3) | instskip(NEXT) | instid1(VALU_DEP_3)
	v_subrev_co_ci_u32_e64 v1, null, s11, v1, vcc_lo
	v_sub_co_u32 v6, vcc_lo, v4, s10
	v_cmp_le_u32_e64 s2, s10, v4
	s_delay_alu instid0(VALU_DEP_3) | instskip(SKIP_1) | instid1(VALU_DEP_3)
	v_subrev_co_ci_u32_e64 v7, null, 0, v1, vcc_lo
	v_subrev_co_ci_u32_e64 v1, null, s11, v1, vcc_lo
	v_cndmask_b32_e64 v8, 0, -1, s2
	v_cmp_le_u32_e64 s2, s10, v6
	v_cmp_le_u32_e32 vcc_lo, s11, v5
	s_delay_alu instid0(VALU_DEP_2) | instskip(SKIP_3) | instid1(VALU_DEP_3)
	v_cndmask_b32_e64 v9, 0, -1, s2
	v_cmp_le_u32_e64 s2, s11, v7
	v_cndmask_b32_e64 v14, 0, -1, vcc_lo
	v_cmp_eq_u32_e32 vcc_lo, s11, v7
	v_cndmask_b32_e64 v13, 0, -1, s2
	v_cmp_eq_u32_e64 s2, s11, v5
	s_delay_alu instid0(VALU_DEP_1) | instskip(SKIP_1) | instid1(VALU_DEP_1)
	v_dual_cndmask_b32 v9, v13, v9, vcc_lo :: v_dual_cndmask_b32 v8, v14, v8, s2
	v_sub_co_u32 v13, vcc_lo, v6, s10
	v_subrev_co_ci_u32_e64 v1, null, 0, v1, vcc_lo
	s_delay_alu instid0(VALU_DEP_3) | instskip(NEXT) | instid1(VALU_DEP_3)
	v_cmp_ne_u32_e32 vcc_lo, 0, v9
	v_cndmask_b32_e32 v6, v6, v13, vcc_lo
	s_delay_alu instid0(VALU_DEP_3) | instskip(SKIP_1) | instid1(VALU_DEP_2)
	v_cndmask_b32_e32 v1, v7, v1, vcc_lo
	v_cmp_ne_u32_e32 vcc_lo, 0, v8
	v_dual_cndmask_b32 v4, v4, v6 :: v_dual_cndmask_b32 v5, v5, v1
	s_delay_alu instid0(VALU_DEP_1)
	v_sub_nc_u64_e64 v[8:9], v[4:5], 0
.LBB32_8:
	s_or_saveexec_b32 s7, s3
	s_load_b64 s[2:3], s[0:1], 0x68
	s_xor_b32 exec_lo, exec_lo, s7
	s_cbranch_execz .LBB32_10
; %bb.9:
	v_cvt_f32_u32_e32 v1, s6
	s_sub_co_i32 s10, 0, s6
	v_mov_b32_e32 v9, 0
	s_delay_alu instid0(VALU_DEP_2) | instskip(SKIP_1) | instid1(TRANS32_DEP_1)
	v_rcp_iflag_f32_e32 v1, v1
	v_nop
	v_mul_f32_e32 v1, 0x4f7ffffe, v1
	s_delay_alu instid0(VALU_DEP_1) | instskip(NEXT) | instid1(VALU_DEP_1)
	v_cvt_u32_f32_e32 v1, v1
	v_mul_lo_u32 v4, s10, v1
	s_delay_alu instid0(VALU_DEP_1) | instskip(NEXT) | instid1(VALU_DEP_1)
	v_mul_hi_u32 v4, v1, v4
	v_add_nc_u32_e32 v1, v1, v4
	s_delay_alu instid0(VALU_DEP_1) | instskip(NEXT) | instid1(VALU_DEP_1)
	v_mul_hi_u32 v1, v2, v1
	v_mul_lo_u32 v1, v1, s6
	s_delay_alu instid0(VALU_DEP_1) | instskip(NEXT) | instid1(VALU_DEP_1)
	v_sub_nc_u32_e32 v1, v2, v1
	v_subrev_nc_u32_e32 v4, s6, v1
	v_cmp_le_u32_e32 vcc_lo, s6, v1
	s_delay_alu instid0(VALU_DEP_2) | instskip(NEXT) | instid1(VALU_DEP_1)
	v_cndmask_b32_e32 v1, v1, v4, vcc_lo
	v_subrev_nc_u32_e32 v4, s6, v1
	v_cmp_le_u32_e32 vcc_lo, s6, v1
	s_delay_alu instid0(VALU_DEP_2)
	v_cndmask_b32_e32 v8, v1, v4, vcc_lo
.LBB32_10:
	s_or_b32 exec_lo, exec_lo, s7
	s_wait_kmcnt 0x0
	v_lshl_add_u64 v[4:5], v[2:3], 3, s[2:3]
	s_mov_b32 s13, 0
	global_load_b64 v[4:5], v[4:5], off
	s_wait_loadcnt 0x0
	v_sub_nc_u64_e64 v[6:7], v[4:5], s[12:13]
	s_delay_alu instid0(VALU_DEP_1)
	v_cmp_lt_i64_e32 vcc_lo, -1, v[6:7]
	s_and_b32 exec_lo, exec_lo, vcc_lo
	s_cbranch_execz .LBB32_39
; %bb.11:
	s_clause 0x1
	s_load_b128 s[12:15], s[0:1], 0x0
	s_load_b64 s[2:3], s[0:1], 0x40
	s_wait_kmcnt 0x0
	s_cmp_eq_u32 s14, 1
	s_cselect_b32 s6, -1, 0
	s_cmp_eq_u32 s12, 0x6f
	s_cselect_b32 s7, -1, 0
	s_cmp_lg_u32 s12, 0x6f
	s_cselect_b32 s10, -1, 0
	s_cmp_lg_u32 s14, 1
	s_cbranch_scc0 .LBB32_15
; %bb.12:
	v_mov_b64_e32 v[4:5], v[8:9]
	s_and_not1_b32 vcc_lo, exec_lo, s7
	s_cbranch_vccnz .LBB32_14
; %bb.13:
	v_mul_u64_e32 v[4:5], s[2:3], v[8:9]
.LBB32_14:
	s_cbranch_execz .LBB32_16
	s_branch .LBB32_19
.LBB32_15:
                                        ; implicit-def: $vgpr4_vgpr5
.LBB32_16:
	s_and_not1_b32 vcc_lo, exec_lo, s10
	s_cbranch_vccnz .LBB32_18
; %bb.17:
	v_mul_u64_e32 v[8:9], s[2:3], v[8:9]
.LBB32_18:
	s_delay_alu instid0(VALU_DEP_1)
	v_mov_b64_e32 v[4:5], v[8:9]
.LBB32_19:
	s_cmp_eq_u32 s15, 1
	s_cselect_b32 s11, -1, 0
	s_cmp_eq_u32 s13, 0x6f
	s_cselect_b32 s12, -1, 0
	s_cmp_lg_u32 s13, 0x6f
	s_cselect_b32 s10, -1, 0
	s_cmp_lg_u32 s15, 1
	s_cbranch_scc0 .LBB32_23
; %bb.20:
	v_mov_b64_e32 v[8:9], v[6:7]
	s_and_not1_b32 vcc_lo, exec_lo, s10
	s_cbranch_vccnz .LBB32_22
; %bb.21:
	v_mul_u64_e32 v[8:9], s[8:9], v[6:7]
.LBB32_22:
	s_cbranch_execz .LBB32_24
	s_branch .LBB32_27
.LBB32_23:
                                        ; implicit-def: $vgpr8_vgpr9
.LBB32_24:
	s_and_not1_b32 vcc_lo, exec_lo, s12
	s_cbranch_vccnz .LBB32_26
; %bb.25:
	v_mul_u64_e32 v[6:7], s[8:9], v[6:7]
.LBB32_26:
	s_delay_alu instid0(VALU_DEP_1)
	v_mov_b64_e32 v[8:9], v[6:7]
.LBB32_27:
	v_dual_mov_b32 v1, 0 :: v_dual_bitop2_b32 v0, 7, v0 bitop3:0x40
	s_mov_b32 s10, exec_lo
	s_delay_alu instid0(VALU_DEP_1)
	v_cmpx_gt_i64_e64 s[4:5], v[0:1]
	s_cbranch_execz .LBB32_31
; %bb.28:
	s_xor_b32 s6, s7, s6
	s_delay_alu instid0(VALU_DEP_3)
	v_lshlrev_b64_e32 v[8:9], 1, v[8:9]
	s_and_b32 s6, s6, exec_lo
	s_cselect_b32 s7, 0, s3
	s_cselect_b32 s6, 1, s2
	s_xor_b32 s2, s12, s11
	v_mul_u64_e32 v[14:15], s[6:7], v[0:1]
	s_and_b32 s2, s2, exec_lo
	s_cselect_b32 s3, s9, 0
	s_cselect_b32 s2, s8, 1
	s_clause 0x1
	s_load_b64 s[8:9], s[0:1], 0x48
	s_load_b64 s[12:13], s[0:1], 0x38
	v_mul_u64_e32 v[6:7], s[2:3], v[0:1]
	v_lshlrev_b64_e32 v[4:5], 1, v[4:5]
	v_mov_b32_e32 v13, 0
	s_lshl_b64 s[2:3], s[2:3], 4
	s_lshl_b64 s[6:7], s[6:7], 4
	s_delay_alu instid0(VALU_DEP_3) | instskip(NEXT) | instid1(VALU_DEP_3)
	v_lshl_add_u64 v[6:7], v[6:7], 1, v[8:9]
	v_lshl_add_u64 v[8:9], v[14:15], 1, v[4:5]
	s_wait_kmcnt 0x0
	s_delay_alu instid0(VALU_DEP_2) | instskip(NEXT) | instid1(VALU_DEP_2)
	v_add_nc_u64_e32 v[4:5], s[8:9], v[6:7]
	v_add_nc_u64_e32 v[6:7], s[12:13], v[8:9]
	v_mov_b64_e32 v[8:9], v[0:1]
	v_mov_b32_e32 v1, v13
	s_mov_b32 s8, 0
.LBB32_29:                              ; =>This Inner Loop Header: Depth=1
	global_load_u16 v13, v[6:7], off
	global_load_u16 v14, v[4:5], off
	v_add_nc_u64_e32 v[8:9], 8, v[8:9]
	s_wait_xcnt 0x0
	v_add_nc_u64_e32 v[4:5], s[2:3], v[4:5]
	v_add_nc_u64_e32 v[6:7], s[6:7], v[6:7]
	s_delay_alu instid0(VALU_DEP_3)
	v_cmp_le_i64_e32 vcc_lo, s[4:5], v[8:9]
	s_or_b32 s8, vcc_lo, s8
	s_wait_loadcnt 0x0
	v_fmac_f16_e32 v1, v13, v14
	s_and_not1_b32 exec_lo, exec_lo, s8
	s_cbranch_execnz .LBB32_29
; %bb.30:
	s_or_b32 exec_lo, exec_lo, s8
.LBB32_31:
	s_delay_alu instid0(SALU_CYCLE_1) | instskip(SKIP_3) | instid1(VALU_DEP_1)
	s_or_b32 exec_lo, exec_lo, s10
	s_load_b64 s[0:1], s[0:1], 0x60
	v_lshlrev_b32_e32 v4, 4, v12
	s_mov_b32 s2, exec_lo
	v_lshl_or_b32 v5, v0, 1, v4
	ds_store_b16 v5, v1
	s_wait_dscnt 0x0
	s_barrier_signal -1
	s_barrier_wait -1
	v_cmpx_gt_u32_e32 4, v0
	s_cbranch_execz .LBB32_33
; %bb.32:
	ds_load_u16 v1, v5
	ds_load_u16 v6, v5 offset:8
	s_wait_dscnt 0x0
	v_add_f16_e32 v1, v6, v1
	ds_store_b16 v5, v1
.LBB32_33:
	s_or_b32 exec_lo, exec_lo, s2
	s_delay_alu instid0(SALU_CYCLE_1)
	s_mov_b32 s2, exec_lo
	s_wait_dscnt 0x0
	s_barrier_signal -1
	s_barrier_wait -1
	v_cmpx_gt_u32_e32 2, v0
	s_cbranch_execz .LBB32_35
; %bb.34:
	ds_load_u16 v1, v5
	ds_load_u16 v6, v5 offset:4
	s_wait_dscnt 0x0
	v_add_f16_e32 v1, v6, v1
	ds_store_b16 v5, v1
.LBB32_35:
	s_or_b32 exec_lo, exec_lo, s2
	v_cmp_eq_u32_e32 vcc_lo, 0, v0
	s_wait_dscnt 0x0
	s_barrier_signal -1
	s_barrier_wait -1
	s_and_saveexec_b32 s2, vcc_lo
	s_cbranch_execz .LBB32_37
; %bb.36:
	ds_load_u16 v0, v5
	ds_load_u16 v1, v5 offset:2
	s_wait_dscnt 0x0
	v_add_f16_e32 v0, v1, v0
	ds_store_b16 v5, v0
.LBB32_37:
	s_or_b32 exec_lo, exec_lo, s2
	s_wait_dscnt 0x0
	s_barrier_signal -1
	s_barrier_wait -1
	s_and_b32 exec_lo, exec_lo, vcc_lo
	s_cbranch_execz .LBB32_39
; %bb.38:
	s_wait_kmcnt 0x0
	v_lshl_add_u64 v[0:1], v[2:3], 1, s[0:1]
	ds_load_u16 v3, v4
	global_load_u16 v2, v[0:1], off
	s_wait_dscnt 0x0
	v_mul_f16_e32 v3, v10, v3
	s_wait_loadcnt 0x0
	s_delay_alu instid0(VALU_DEP_1)
	v_fmac_f16_e32 v3, v11, v2
	global_store_b16 v[0:1], v3, off
.LBB32_39:
	s_endpgm
	.section	.rodata,"a",@progbits
	.p2align	6, 0x0
	.amdhsa_kernel _ZN9rocsparseL16sddmm_ell_kernelILi512ELi8EDF16_llDF16_DF16_DF16_EEv20rocsparse_operation_S1_16rocsparse_order_S2_T3_S3_S3_T2_NS_24const_host_device_scalarIT1_EEPKT4_lPKT5_lS7_PT6_PKS3_21rocsparse_index_base_b
		.amdhsa_group_segment_fixed_size 1024
		.amdhsa_private_segment_fixed_size 0
		.amdhsa_kernarg_size 120
		.amdhsa_user_sgpr_count 2
		.amdhsa_user_sgpr_dispatch_ptr 0
		.amdhsa_user_sgpr_queue_ptr 0
		.amdhsa_user_sgpr_kernarg_segment_ptr 1
		.amdhsa_user_sgpr_dispatch_id 0
		.amdhsa_user_sgpr_kernarg_preload_length 0
		.amdhsa_user_sgpr_kernarg_preload_offset 0
		.amdhsa_user_sgpr_private_segment_size 0
		.amdhsa_wavefront_size32 1
		.amdhsa_uses_dynamic_stack 0
		.amdhsa_enable_private_segment 0
		.amdhsa_system_sgpr_workgroup_id_x 1
		.amdhsa_system_sgpr_workgroup_id_y 0
		.amdhsa_system_sgpr_workgroup_id_z 0
		.amdhsa_system_sgpr_workgroup_info 0
		.amdhsa_system_vgpr_workitem_id 0
		.amdhsa_next_free_vgpr 18
		.amdhsa_next_free_sgpr 24
		.amdhsa_named_barrier_count 0
		.amdhsa_reserve_vcc 1
		.amdhsa_float_round_mode_32 0
		.amdhsa_float_round_mode_16_64 0
		.amdhsa_float_denorm_mode_32 3
		.amdhsa_float_denorm_mode_16_64 3
		.amdhsa_fp16_overflow 0
		.amdhsa_memory_ordered 1
		.amdhsa_forward_progress 1
		.amdhsa_inst_pref_size 14
		.amdhsa_round_robin_scheduling 0
		.amdhsa_exception_fp_ieee_invalid_op 0
		.amdhsa_exception_fp_denorm_src 0
		.amdhsa_exception_fp_ieee_div_zero 0
		.amdhsa_exception_fp_ieee_overflow 0
		.amdhsa_exception_fp_ieee_underflow 0
		.amdhsa_exception_fp_ieee_inexact 0
		.amdhsa_exception_int_div_zero 0
	.end_amdhsa_kernel
	.section	.text._ZN9rocsparseL16sddmm_ell_kernelILi512ELi8EDF16_llDF16_DF16_DF16_EEv20rocsparse_operation_S1_16rocsparse_order_S2_T3_S3_S3_T2_NS_24const_host_device_scalarIT1_EEPKT4_lPKT5_lS7_PT6_PKS3_21rocsparse_index_base_b,"axG",@progbits,_ZN9rocsparseL16sddmm_ell_kernelILi512ELi8EDF16_llDF16_DF16_DF16_EEv20rocsparse_operation_S1_16rocsparse_order_S2_T3_S3_S3_T2_NS_24const_host_device_scalarIT1_EEPKT4_lPKT5_lS7_PT6_PKS3_21rocsparse_index_base_b,comdat
.Lfunc_end32:
	.size	_ZN9rocsparseL16sddmm_ell_kernelILi512ELi8EDF16_llDF16_DF16_DF16_EEv20rocsparse_operation_S1_16rocsparse_order_S2_T3_S3_S3_T2_NS_24const_host_device_scalarIT1_EEPKT4_lPKT5_lS7_PT6_PKS3_21rocsparse_index_base_b, .Lfunc_end32-_ZN9rocsparseL16sddmm_ell_kernelILi512ELi8EDF16_llDF16_DF16_DF16_EEv20rocsparse_operation_S1_16rocsparse_order_S2_T3_S3_S3_T2_NS_24const_host_device_scalarIT1_EEPKT4_lPKT5_lS7_PT6_PKS3_21rocsparse_index_base_b
                                        ; -- End function
	.set _ZN9rocsparseL16sddmm_ell_kernelILi512ELi8EDF16_llDF16_DF16_DF16_EEv20rocsparse_operation_S1_16rocsparse_order_S2_T3_S3_S3_T2_NS_24const_host_device_scalarIT1_EEPKT4_lPKT5_lS7_PT6_PKS3_21rocsparse_index_base_b.num_vgpr, 18
	.set _ZN9rocsparseL16sddmm_ell_kernelILi512ELi8EDF16_llDF16_DF16_DF16_EEv20rocsparse_operation_S1_16rocsparse_order_S2_T3_S3_S3_T2_NS_24const_host_device_scalarIT1_EEPKT4_lPKT5_lS7_PT6_PKS3_21rocsparse_index_base_b.num_agpr, 0
	.set _ZN9rocsparseL16sddmm_ell_kernelILi512ELi8EDF16_llDF16_DF16_DF16_EEv20rocsparse_operation_S1_16rocsparse_order_S2_T3_S3_S3_T2_NS_24const_host_device_scalarIT1_EEPKT4_lPKT5_lS7_PT6_PKS3_21rocsparse_index_base_b.numbered_sgpr, 24
	.set _ZN9rocsparseL16sddmm_ell_kernelILi512ELi8EDF16_llDF16_DF16_DF16_EEv20rocsparse_operation_S1_16rocsparse_order_S2_T3_S3_S3_T2_NS_24const_host_device_scalarIT1_EEPKT4_lPKT5_lS7_PT6_PKS3_21rocsparse_index_base_b.num_named_barrier, 0
	.set _ZN9rocsparseL16sddmm_ell_kernelILi512ELi8EDF16_llDF16_DF16_DF16_EEv20rocsparse_operation_S1_16rocsparse_order_S2_T3_S3_S3_T2_NS_24const_host_device_scalarIT1_EEPKT4_lPKT5_lS7_PT6_PKS3_21rocsparse_index_base_b.private_seg_size, 0
	.set _ZN9rocsparseL16sddmm_ell_kernelILi512ELi8EDF16_llDF16_DF16_DF16_EEv20rocsparse_operation_S1_16rocsparse_order_S2_T3_S3_S3_T2_NS_24const_host_device_scalarIT1_EEPKT4_lPKT5_lS7_PT6_PKS3_21rocsparse_index_base_b.uses_vcc, 1
	.set _ZN9rocsparseL16sddmm_ell_kernelILi512ELi8EDF16_llDF16_DF16_DF16_EEv20rocsparse_operation_S1_16rocsparse_order_S2_T3_S3_S3_T2_NS_24const_host_device_scalarIT1_EEPKT4_lPKT5_lS7_PT6_PKS3_21rocsparse_index_base_b.uses_flat_scratch, 0
	.set _ZN9rocsparseL16sddmm_ell_kernelILi512ELi8EDF16_llDF16_DF16_DF16_EEv20rocsparse_operation_S1_16rocsparse_order_S2_T3_S3_S3_T2_NS_24const_host_device_scalarIT1_EEPKT4_lPKT5_lS7_PT6_PKS3_21rocsparse_index_base_b.has_dyn_sized_stack, 0
	.set _ZN9rocsparseL16sddmm_ell_kernelILi512ELi8EDF16_llDF16_DF16_DF16_EEv20rocsparse_operation_S1_16rocsparse_order_S2_T3_S3_S3_T2_NS_24const_host_device_scalarIT1_EEPKT4_lPKT5_lS7_PT6_PKS3_21rocsparse_index_base_b.has_recursion, 0
	.set _ZN9rocsparseL16sddmm_ell_kernelILi512ELi8EDF16_llDF16_DF16_DF16_EEv20rocsparse_operation_S1_16rocsparse_order_S2_T3_S3_S3_T2_NS_24const_host_device_scalarIT1_EEPKT4_lPKT5_lS7_PT6_PKS3_21rocsparse_index_base_b.has_indirect_call, 0
	.section	.AMDGPU.csdata,"",@progbits
; Kernel info:
; codeLenInByte = 1788
; TotalNumSgprs: 26
; NumVgprs: 18
; ScratchSize: 0
; MemoryBound: 0
; FloatMode: 240
; IeeeMode: 1
; LDSByteSize: 1024 bytes/workgroup (compile time only)
; SGPRBlocks: 0
; VGPRBlocks: 1
; NumSGPRsForWavesPerEU: 26
; NumVGPRsForWavesPerEU: 18
; NamedBarCnt: 0
; Occupancy: 16
; WaveLimiterHint : 0
; COMPUTE_PGM_RSRC2:SCRATCH_EN: 0
; COMPUTE_PGM_RSRC2:USER_SGPR: 2
; COMPUTE_PGM_RSRC2:TRAP_HANDLER: 0
; COMPUTE_PGM_RSRC2:TGID_X_EN: 1
; COMPUTE_PGM_RSRC2:TGID_Y_EN: 0
; COMPUTE_PGM_RSRC2:TGID_Z_EN: 0
; COMPUTE_PGM_RSRC2:TIDIG_COMP_CNT: 0
	.section	.text._ZN9rocsparseL16sddmm_ell_kernelILi512ELi4EDF16_llDF16_DF16_DF16_EEv20rocsparse_operation_S1_16rocsparse_order_S2_T3_S3_S3_T2_NS_24const_host_device_scalarIT1_EEPKT4_lPKT5_lS7_PT6_PKS3_21rocsparse_index_base_b,"axG",@progbits,_ZN9rocsparseL16sddmm_ell_kernelILi512ELi4EDF16_llDF16_DF16_DF16_EEv20rocsparse_operation_S1_16rocsparse_order_S2_T3_S3_S3_T2_NS_24const_host_device_scalarIT1_EEPKT4_lPKT5_lS7_PT6_PKS3_21rocsparse_index_base_b,comdat
	.globl	_ZN9rocsparseL16sddmm_ell_kernelILi512ELi4EDF16_llDF16_DF16_DF16_EEv20rocsparse_operation_S1_16rocsparse_order_S2_T3_S3_S3_T2_NS_24const_host_device_scalarIT1_EEPKT4_lPKT5_lS7_PT6_PKS3_21rocsparse_index_base_b ; -- Begin function _ZN9rocsparseL16sddmm_ell_kernelILi512ELi4EDF16_llDF16_DF16_DF16_EEv20rocsparse_operation_S1_16rocsparse_order_S2_T3_S3_S3_T2_NS_24const_host_device_scalarIT1_EEPKT4_lPKT5_lS7_PT6_PKS3_21rocsparse_index_base_b
	.p2align	8
	.type	_ZN9rocsparseL16sddmm_ell_kernelILi512ELi4EDF16_llDF16_DF16_DF16_EEv20rocsparse_operation_S1_16rocsparse_order_S2_T3_S3_S3_T2_NS_24const_host_device_scalarIT1_EEPKT4_lPKT5_lS7_PT6_PKS3_21rocsparse_index_base_b,@function
_ZN9rocsparseL16sddmm_ell_kernelILi512ELi4EDF16_llDF16_DF16_DF16_EEv20rocsparse_operation_S1_16rocsparse_order_S2_T3_S3_S3_T2_NS_24const_host_device_scalarIT1_EEPKT4_lPKT5_lS7_PT6_PKS3_21rocsparse_index_base_b: ; @_ZN9rocsparseL16sddmm_ell_kernelILi512ELi4EDF16_llDF16_DF16_DF16_EEv20rocsparse_operation_S1_16rocsparse_order_S2_T3_S3_S3_T2_NS_24const_host_device_scalarIT1_EEPKT4_lPKT5_lS7_PT6_PKS3_21rocsparse_index_base_b
; %bb.0:
	s_clause 0x2
	s_load_b64 s[12:13], s[0:1], 0x70
	s_load_b64 s[2:3], s[0:1], 0x30
	s_load_b128 s[8:11], s[0:1], 0x50
	s_wait_kmcnt 0x0
	s_bitcmp1_b32 s13, 0
	v_mov_b32_e32 v10, s2
	s_cselect_b32 s4, -1, 0
	s_delay_alu instid0(SALU_CYCLE_1)
	s_and_b32 vcc_lo, exec_lo, s4
	s_xor_b32 s4, s4, -1
	s_cbranch_vccnz .LBB33_2
; %bb.1:
	v_mov_b32_e32 v1, 0
	global_load_u16 v10, v1, s[2:3]
.LBB33_2:
	v_mov_b32_e32 v11, s10
	s_and_not1_b32 vcc_lo, exec_lo, s4
	s_cbranch_vccnz .LBB33_4
; %bb.3:
	s_wait_xcnt 0x0
	v_mov_b32_e32 v1, 0
	global_load_u16 v11, v1, s[10:11]
.LBB33_4:
	s_wait_loadcnt 0x0
	v_cmp_eq_f16_e32 vcc_lo, 0, v10
	v_cmp_eq_f16_e64 s2, 1.0, v11
	s_and_b32 s2, vcc_lo, s2
	s_delay_alu instid0(SALU_CYCLE_1)
	s_and_b32 vcc_lo, exec_lo, s2
	s_cbranch_vccnz .LBB33_37
; %bb.5:
	s_load_b128 s[4:7], s[0:1], 0x20
	s_bfe_u32 s2, ttmp6, 0x4000c
	s_and_b32 s3, ttmp6, 15
	s_add_co_i32 s2, s2, 1
	s_getreg_b32 s10, hwreg(HW_REG_IB_STS2, 6, 4)
	s_mul_i32 s2, ttmp9, s2
	v_dual_mov_b32 v3, 0 :: v_dual_lshrrev_b32 v12, 2, v0
	s_add_co_i32 s3, s3, s2
	s_cmp_eq_u32 s10, 0
	s_cselect_b32 s2, ttmp9, s3
	s_delay_alu instid0(VALU_DEP_1) | instid1(SALU_CYCLE_1)
	v_lshl_or_b32 v2, s2, 7, v12
	s_mov_b32 s2, exec_lo
	s_wait_kmcnt 0x0
	s_delay_alu instid0(VALU_DEP_1)
	v_cmpx_gt_i64_e64 s[6:7], v[2:3]
	s_cbranch_execz .LBB33_37
; %bb.6:
	s_load_b64 s[6:7], s[0:1], 0x10
                                        ; implicit-def: $vgpr8_vgpr9
	s_wait_kmcnt 0x0
	s_and_b64 s[2:3], s[6:7], 0xffffffff00000000
	s_delay_alu instid0(SALU_CYCLE_1) | instskip(SKIP_1) | instid1(SALU_CYCLE_1)
	s_cmp_lg_u64 s[2:3], 0
	s_cselect_b32 s2, -1, 0
	s_and_saveexec_b32 s3, s2
	s_delay_alu instid0(SALU_CYCLE_1)
	s_xor_b32 s3, exec_lo, s3
	s_cbranch_execz .LBB33_8
; %bb.7:
	s_ashr_i32 s10, s7, 31
	s_mov_b32 s21, 0
	s_mov_b32 s11, s10
	v_add_nc_u64_e32 v[4:5], 0, v[2:3]
	s_add_nc_u64 s[14:15], s[6:7], s[10:11]
	v_mov_b32_e32 v7, 0
	s_xor_b64 s[10:11], s[14:15], s[10:11]
	s_delay_alu instid0(SALU_CYCLE_1) | instskip(SKIP_3) | instid1(SALU_CYCLE_1)
	s_cvt_f32_u32 s2, s10
	s_cvt_f32_u32 s7, s11
	s_sub_nc_u64 s[16:17], 0, s[10:11]
	v_mov_b32_e32 v6, v4
	s_fmamk_f32 s2, s7, 0x4f800000, s2
	s_delay_alu instid0(SALU_CYCLE_3) | instskip(NEXT) | instid1(TRANS32_DEP_1)
	v_s_rcp_f32 s2, s2
	s_mul_f32 s2, s2, 0x5f7ffffc
	s_delay_alu instid0(SALU_CYCLE_3) | instskip(NEXT) | instid1(SALU_CYCLE_3)
	s_mul_f32 s7, s2, 0x2f800000
	s_trunc_f32 s7, s7
	s_delay_alu instid0(SALU_CYCLE_3) | instskip(SKIP_1) | instid1(SALU_CYCLE_2)
	s_fmamk_f32 s2, s7, 0xcf800000, s2
	s_cvt_u32_f32 s15, s7
	s_cvt_u32_f32 s14, s2
	s_delay_alu instid0(SALU_CYCLE_3) | instskip(NEXT) | instid1(SALU_CYCLE_1)
	s_mul_u64 s[18:19], s[16:17], s[14:15]
	s_mul_hi_u32 s23, s14, s19
	s_mul_i32 s22, s14, s19
	s_mul_hi_u32 s20, s14, s18
	s_mul_i32 s7, s15, s18
	s_add_nc_u64 s[22:23], s[20:21], s[22:23]
	s_mul_hi_u32 s2, s15, s18
	s_mul_hi_u32 s13, s15, s19
	s_add_co_u32 s7, s22, s7
	s_add_co_ci_u32 s20, s23, s2
	s_mul_i32 s18, s15, s19
	s_add_co_ci_u32 s19, s13, 0
	s_delay_alu instid0(SALU_CYCLE_1) | instskip(NEXT) | instid1(SALU_CYCLE_1)
	s_add_nc_u64 s[18:19], s[20:21], s[18:19]
	s_add_co_u32 s14, s14, s18
	s_cselect_b32 s2, -1, 0
	s_delay_alu instid0(SALU_CYCLE_1) | instskip(SKIP_1) | instid1(SALU_CYCLE_1)
	s_cmp_lg_u32 s2, 0
	s_add_co_ci_u32 s15, s15, s19
	s_mul_u64 s[16:17], s[16:17], s[14:15]
	s_delay_alu instid0(SALU_CYCLE_1)
	s_mul_hi_u32 s19, s14, s17
	s_mul_i32 s18, s14, s17
	s_mul_hi_u32 s20, s14, s16
	s_mul_i32 s7, s15, s16
	s_add_nc_u64 s[18:19], s[20:21], s[18:19]
	s_mul_hi_u32 s2, s15, s16
	s_mul_hi_u32 s13, s15, s17
	s_add_co_u32 s7, s18, s7
	s_add_co_ci_u32 s20, s19, s2
	s_mul_i32 s16, s15, s17
	s_add_co_ci_u32 s17, s13, 0
	s_delay_alu instid0(SALU_CYCLE_1) | instskip(NEXT) | instid1(SALU_CYCLE_1)
	s_add_nc_u64 s[16:17], s[20:21], s[16:17]
	s_add_co_u32 s2, s14, s16
	s_cselect_b32 s7, -1, 0
	s_delay_alu instid0(SALU_CYCLE_1)
	s_cmp_lg_u32 s7, 0
	s_add_co_ci_u32 s20, s15, s17
	s_mov_b64 s[14:15], 0xffffffff
	v_mul_u64_e32 v[8:9], s[20:21], v[6:7]
	v_mul_hi_u32 v6, v4, s2
	s_and_b64 s[14:15], s[2:3], s[14:15]
	s_delay_alu instid0(VALU_DEP_1) | instskip(SKIP_1) | instid1(VALU_DEP_1)
	v_add_nc_u64_e32 v[8:9], v[6:7], v[8:9]
	v_mov_b32_e32 v6, v5
	v_mul_u64_e32 v[14:15], s[14:15], v[6:7]
	v_mul_u64_e32 v[16:17], s[20:21], v[6:7]
	s_delay_alu instid0(VALU_DEP_2) | instskip(NEXT) | instid1(VALU_DEP_3)
	v_add_co_u32 v1, vcc_lo, v8, v14
	v_add_co_ci_u32_e32 v6, vcc_lo, v9, v15, vcc_lo
	s_delay_alu instid0(VALU_DEP_3) | instskip(NEXT) | instid1(VALU_DEP_1)
	v_add_co_ci_u32_e32 v17, vcc_lo, 0, v17, vcc_lo
	v_add_nc_u64_e32 v[6:7], v[6:7], v[16:17]
	s_delay_alu instid0(VALU_DEP_1) | instskip(NEXT) | instid1(VALU_DEP_1)
	v_mul_u64_e32 v[6:7], s[10:11], v[6:7]
	v_sub_nc_u32_e32 v1, v5, v7
	s_delay_alu instid0(VALU_DEP_2) | instskip(NEXT) | instid1(VALU_DEP_1)
	v_sub_co_u32 v4, vcc_lo, v4, v6
	v_sub_co_ci_u32_e64 v5, null, v5, v7, vcc_lo
	s_delay_alu instid0(VALU_DEP_3) | instskip(NEXT) | instid1(VALU_DEP_3)
	v_subrev_co_ci_u32_e64 v1, null, s11, v1, vcc_lo
	v_sub_co_u32 v6, vcc_lo, v4, s10
	v_cmp_le_u32_e64 s2, s10, v4
	s_delay_alu instid0(VALU_DEP_3) | instskip(SKIP_1) | instid1(VALU_DEP_3)
	v_subrev_co_ci_u32_e64 v7, null, 0, v1, vcc_lo
	v_subrev_co_ci_u32_e64 v1, null, s11, v1, vcc_lo
	v_cndmask_b32_e64 v8, 0, -1, s2
	v_cmp_le_u32_e64 s2, s10, v6
	v_cmp_le_u32_e32 vcc_lo, s11, v5
	s_delay_alu instid0(VALU_DEP_2) | instskip(SKIP_3) | instid1(VALU_DEP_3)
	v_cndmask_b32_e64 v9, 0, -1, s2
	v_cmp_le_u32_e64 s2, s11, v7
	v_cndmask_b32_e64 v14, 0, -1, vcc_lo
	v_cmp_eq_u32_e32 vcc_lo, s11, v7
	v_cndmask_b32_e64 v13, 0, -1, s2
	v_cmp_eq_u32_e64 s2, s11, v5
	s_delay_alu instid0(VALU_DEP_1) | instskip(SKIP_1) | instid1(VALU_DEP_1)
	v_dual_cndmask_b32 v9, v13, v9, vcc_lo :: v_dual_cndmask_b32 v8, v14, v8, s2
	v_sub_co_u32 v13, vcc_lo, v6, s10
	v_subrev_co_ci_u32_e64 v1, null, 0, v1, vcc_lo
	s_delay_alu instid0(VALU_DEP_3) | instskip(NEXT) | instid1(VALU_DEP_3)
	v_cmp_ne_u32_e32 vcc_lo, 0, v9
	v_cndmask_b32_e32 v6, v6, v13, vcc_lo
	s_delay_alu instid0(VALU_DEP_3) | instskip(SKIP_1) | instid1(VALU_DEP_2)
	v_cndmask_b32_e32 v1, v7, v1, vcc_lo
	v_cmp_ne_u32_e32 vcc_lo, 0, v8
	v_dual_cndmask_b32 v4, v4, v6 :: v_dual_cndmask_b32 v5, v5, v1
	s_delay_alu instid0(VALU_DEP_1)
	v_sub_nc_u64_e64 v[8:9], v[4:5], 0
.LBB33_8:
	s_or_saveexec_b32 s7, s3
	s_load_b64 s[2:3], s[0:1], 0x68
	s_xor_b32 exec_lo, exec_lo, s7
	s_cbranch_execz .LBB33_10
; %bb.9:
	v_cvt_f32_u32_e32 v1, s6
	s_sub_co_i32 s10, 0, s6
	v_mov_b32_e32 v9, 0
	s_delay_alu instid0(VALU_DEP_2) | instskip(SKIP_1) | instid1(TRANS32_DEP_1)
	v_rcp_iflag_f32_e32 v1, v1
	v_nop
	v_mul_f32_e32 v1, 0x4f7ffffe, v1
	s_delay_alu instid0(VALU_DEP_1) | instskip(NEXT) | instid1(VALU_DEP_1)
	v_cvt_u32_f32_e32 v1, v1
	v_mul_lo_u32 v4, s10, v1
	s_delay_alu instid0(VALU_DEP_1) | instskip(NEXT) | instid1(VALU_DEP_1)
	v_mul_hi_u32 v4, v1, v4
	v_add_nc_u32_e32 v1, v1, v4
	s_delay_alu instid0(VALU_DEP_1) | instskip(NEXT) | instid1(VALU_DEP_1)
	v_mul_hi_u32 v1, v2, v1
	v_mul_lo_u32 v1, v1, s6
	s_delay_alu instid0(VALU_DEP_1) | instskip(NEXT) | instid1(VALU_DEP_1)
	v_sub_nc_u32_e32 v1, v2, v1
	v_subrev_nc_u32_e32 v4, s6, v1
	v_cmp_le_u32_e32 vcc_lo, s6, v1
	s_delay_alu instid0(VALU_DEP_2) | instskip(NEXT) | instid1(VALU_DEP_1)
	v_cndmask_b32_e32 v1, v1, v4, vcc_lo
	v_subrev_nc_u32_e32 v4, s6, v1
	v_cmp_le_u32_e32 vcc_lo, s6, v1
	s_delay_alu instid0(VALU_DEP_2)
	v_cndmask_b32_e32 v8, v1, v4, vcc_lo
.LBB33_10:
	s_or_b32 exec_lo, exec_lo, s7
	s_wait_kmcnt 0x0
	v_lshl_add_u64 v[4:5], v[2:3], 3, s[2:3]
	s_mov_b32 s13, 0
	global_load_b64 v[4:5], v[4:5], off
	s_wait_loadcnt 0x0
	v_sub_nc_u64_e64 v[6:7], v[4:5], s[12:13]
	s_delay_alu instid0(VALU_DEP_1)
	v_cmp_lt_i64_e32 vcc_lo, -1, v[6:7]
	s_and_b32 exec_lo, exec_lo, vcc_lo
	s_cbranch_execz .LBB33_37
; %bb.11:
	s_clause 0x1
	s_load_b128 s[12:15], s[0:1], 0x0
	s_load_b64 s[2:3], s[0:1], 0x40
	s_wait_kmcnt 0x0
	s_cmp_eq_u32 s14, 1
	s_cselect_b32 s6, -1, 0
	s_cmp_eq_u32 s12, 0x6f
	s_cselect_b32 s7, -1, 0
	s_cmp_lg_u32 s12, 0x6f
	s_cselect_b32 s10, -1, 0
	s_cmp_lg_u32 s14, 1
	s_cbranch_scc0 .LBB33_15
; %bb.12:
	v_mov_b64_e32 v[4:5], v[8:9]
	s_and_not1_b32 vcc_lo, exec_lo, s7
	s_cbranch_vccnz .LBB33_14
; %bb.13:
	v_mul_u64_e32 v[4:5], s[2:3], v[8:9]
.LBB33_14:
	s_cbranch_execz .LBB33_16
	s_branch .LBB33_19
.LBB33_15:
                                        ; implicit-def: $vgpr4_vgpr5
.LBB33_16:
	s_and_not1_b32 vcc_lo, exec_lo, s10
	s_cbranch_vccnz .LBB33_18
; %bb.17:
	v_mul_u64_e32 v[8:9], s[2:3], v[8:9]
.LBB33_18:
	s_delay_alu instid0(VALU_DEP_1)
	v_mov_b64_e32 v[4:5], v[8:9]
.LBB33_19:
	s_cmp_eq_u32 s15, 1
	s_cselect_b32 s11, -1, 0
	s_cmp_eq_u32 s13, 0x6f
	s_cselect_b32 s12, -1, 0
	s_cmp_lg_u32 s13, 0x6f
	s_cselect_b32 s10, -1, 0
	s_cmp_lg_u32 s15, 1
	s_cbranch_scc0 .LBB33_23
; %bb.20:
	v_mov_b64_e32 v[8:9], v[6:7]
	s_and_not1_b32 vcc_lo, exec_lo, s10
	s_cbranch_vccnz .LBB33_22
; %bb.21:
	v_mul_u64_e32 v[8:9], s[8:9], v[6:7]
.LBB33_22:
	s_cbranch_execz .LBB33_24
	s_branch .LBB33_27
.LBB33_23:
                                        ; implicit-def: $vgpr8_vgpr9
.LBB33_24:
	s_and_not1_b32 vcc_lo, exec_lo, s12
	s_cbranch_vccnz .LBB33_26
; %bb.25:
	v_mul_u64_e32 v[6:7], s[8:9], v[6:7]
.LBB33_26:
	s_delay_alu instid0(VALU_DEP_1)
	v_mov_b64_e32 v[8:9], v[6:7]
.LBB33_27:
	v_dual_mov_b32 v1, 0 :: v_dual_bitop2_b32 v0, 3, v0 bitop3:0x40
	s_mov_b32 s10, exec_lo
	s_delay_alu instid0(VALU_DEP_1)
	v_cmpx_gt_i64_e64 s[4:5], v[0:1]
	s_cbranch_execz .LBB33_31
; %bb.28:
	s_xor_b32 s6, s7, s6
	s_delay_alu instid0(VALU_DEP_3)
	v_lshlrev_b64_e32 v[8:9], 1, v[8:9]
	s_and_b32 s6, s6, exec_lo
	s_cselect_b32 s7, 0, s3
	s_cselect_b32 s6, 1, s2
	s_xor_b32 s2, s12, s11
	v_mul_u64_e32 v[14:15], s[6:7], v[0:1]
	s_and_b32 s2, s2, exec_lo
	s_cselect_b32 s3, s9, 0
	s_cselect_b32 s2, s8, 1
	s_clause 0x1
	s_load_b64 s[8:9], s[0:1], 0x48
	s_load_b64 s[12:13], s[0:1], 0x38
	v_mul_u64_e32 v[6:7], s[2:3], v[0:1]
	v_lshlrev_b64_e32 v[4:5], 1, v[4:5]
	v_mov_b32_e32 v13, 0
	s_lshl_b64 s[2:3], s[2:3], 3
	s_lshl_b64 s[6:7], s[6:7], 3
	s_delay_alu instid0(VALU_DEP_3) | instskip(NEXT) | instid1(VALU_DEP_3)
	v_lshl_add_u64 v[6:7], v[6:7], 1, v[8:9]
	v_lshl_add_u64 v[8:9], v[14:15], 1, v[4:5]
	s_wait_kmcnt 0x0
	s_delay_alu instid0(VALU_DEP_2) | instskip(NEXT) | instid1(VALU_DEP_2)
	v_add_nc_u64_e32 v[4:5], s[8:9], v[6:7]
	v_add_nc_u64_e32 v[6:7], s[12:13], v[8:9]
	v_mov_b64_e32 v[8:9], v[0:1]
	v_mov_b32_e32 v1, v13
	s_mov_b32 s8, 0
.LBB33_29:                              ; =>This Inner Loop Header: Depth=1
	global_load_u16 v13, v[6:7], off
	global_load_u16 v14, v[4:5], off
	v_add_nc_u64_e32 v[8:9], 4, v[8:9]
	s_wait_xcnt 0x0
	v_add_nc_u64_e32 v[4:5], s[2:3], v[4:5]
	v_add_nc_u64_e32 v[6:7], s[6:7], v[6:7]
	s_delay_alu instid0(VALU_DEP_3)
	v_cmp_le_i64_e32 vcc_lo, s[4:5], v[8:9]
	s_or_b32 s8, vcc_lo, s8
	s_wait_loadcnt 0x0
	v_fmac_f16_e32 v1, v13, v14
	s_and_not1_b32 exec_lo, exec_lo, s8
	s_cbranch_execnz .LBB33_29
; %bb.30:
	s_or_b32 exec_lo, exec_lo, s8
.LBB33_31:
	s_delay_alu instid0(SALU_CYCLE_1) | instskip(SKIP_3) | instid1(VALU_DEP_1)
	s_or_b32 exec_lo, exec_lo, s10
	s_load_b64 s[0:1], s[0:1], 0x60
	v_lshlrev_b32_e32 v4, 3, v12
	s_mov_b32 s2, exec_lo
	v_lshl_or_b32 v5, v0, 1, v4
	ds_store_b16 v5, v1
	s_wait_dscnt 0x0
	s_barrier_signal -1
	s_barrier_wait -1
	v_cmpx_gt_u32_e32 2, v0
	s_cbranch_execz .LBB33_33
; %bb.32:
	ds_load_u16 v1, v5
	ds_load_u16 v6, v5 offset:4
	s_wait_dscnt 0x0
	v_add_f16_e32 v1, v6, v1
	ds_store_b16 v5, v1
.LBB33_33:
	s_or_b32 exec_lo, exec_lo, s2
	v_cmp_eq_u32_e32 vcc_lo, 0, v0
	s_wait_dscnt 0x0
	s_barrier_signal -1
	s_barrier_wait -1
	s_and_saveexec_b32 s2, vcc_lo
	s_cbranch_execz .LBB33_35
; %bb.34:
	ds_load_u16 v0, v5
	ds_load_u16 v1, v5 offset:2
	s_wait_dscnt 0x0
	v_add_f16_e32 v0, v1, v0
	ds_store_b16 v5, v0
.LBB33_35:
	s_or_b32 exec_lo, exec_lo, s2
	s_wait_dscnt 0x0
	s_barrier_signal -1
	s_barrier_wait -1
	s_and_b32 exec_lo, exec_lo, vcc_lo
	s_cbranch_execz .LBB33_37
; %bb.36:
	s_wait_kmcnt 0x0
	v_lshl_add_u64 v[0:1], v[2:3], 1, s[0:1]
	ds_load_u16 v3, v4
	global_load_u16 v2, v[0:1], off
	s_wait_dscnt 0x0
	v_mul_f16_e32 v3, v10, v3
	s_wait_loadcnt 0x0
	s_delay_alu instid0(VALU_DEP_1)
	v_fmac_f16_e32 v3, v11, v2
	global_store_b16 v[0:1], v3, off
.LBB33_37:
	s_endpgm
	.section	.rodata,"a",@progbits
	.p2align	6, 0x0
	.amdhsa_kernel _ZN9rocsparseL16sddmm_ell_kernelILi512ELi4EDF16_llDF16_DF16_DF16_EEv20rocsparse_operation_S1_16rocsparse_order_S2_T3_S3_S3_T2_NS_24const_host_device_scalarIT1_EEPKT4_lPKT5_lS7_PT6_PKS3_21rocsparse_index_base_b
		.amdhsa_group_segment_fixed_size 1024
		.amdhsa_private_segment_fixed_size 0
		.amdhsa_kernarg_size 120
		.amdhsa_user_sgpr_count 2
		.amdhsa_user_sgpr_dispatch_ptr 0
		.amdhsa_user_sgpr_queue_ptr 0
		.amdhsa_user_sgpr_kernarg_segment_ptr 1
		.amdhsa_user_sgpr_dispatch_id 0
		.amdhsa_user_sgpr_kernarg_preload_length 0
		.amdhsa_user_sgpr_kernarg_preload_offset 0
		.amdhsa_user_sgpr_private_segment_size 0
		.amdhsa_wavefront_size32 1
		.amdhsa_uses_dynamic_stack 0
		.amdhsa_enable_private_segment 0
		.amdhsa_system_sgpr_workgroup_id_x 1
		.amdhsa_system_sgpr_workgroup_id_y 0
		.amdhsa_system_sgpr_workgroup_id_z 0
		.amdhsa_system_sgpr_workgroup_info 0
		.amdhsa_system_vgpr_workitem_id 0
		.amdhsa_next_free_vgpr 18
		.amdhsa_next_free_sgpr 24
		.amdhsa_named_barrier_count 0
		.amdhsa_reserve_vcc 1
		.amdhsa_float_round_mode_32 0
		.amdhsa_float_round_mode_16_64 0
		.amdhsa_float_denorm_mode_32 3
		.amdhsa_float_denorm_mode_16_64 3
		.amdhsa_fp16_overflow 0
		.amdhsa_memory_ordered 1
		.amdhsa_forward_progress 1
		.amdhsa_inst_pref_size 14
		.amdhsa_round_robin_scheduling 0
		.amdhsa_exception_fp_ieee_invalid_op 0
		.amdhsa_exception_fp_denorm_src 0
		.amdhsa_exception_fp_ieee_div_zero 0
		.amdhsa_exception_fp_ieee_overflow 0
		.amdhsa_exception_fp_ieee_underflow 0
		.amdhsa_exception_fp_ieee_inexact 0
		.amdhsa_exception_int_div_zero 0
	.end_amdhsa_kernel
	.section	.text._ZN9rocsparseL16sddmm_ell_kernelILi512ELi4EDF16_llDF16_DF16_DF16_EEv20rocsparse_operation_S1_16rocsparse_order_S2_T3_S3_S3_T2_NS_24const_host_device_scalarIT1_EEPKT4_lPKT5_lS7_PT6_PKS3_21rocsparse_index_base_b,"axG",@progbits,_ZN9rocsparseL16sddmm_ell_kernelILi512ELi4EDF16_llDF16_DF16_DF16_EEv20rocsparse_operation_S1_16rocsparse_order_S2_T3_S3_S3_T2_NS_24const_host_device_scalarIT1_EEPKT4_lPKT5_lS7_PT6_PKS3_21rocsparse_index_base_b,comdat
.Lfunc_end33:
	.size	_ZN9rocsparseL16sddmm_ell_kernelILi512ELi4EDF16_llDF16_DF16_DF16_EEv20rocsparse_operation_S1_16rocsparse_order_S2_T3_S3_S3_T2_NS_24const_host_device_scalarIT1_EEPKT4_lPKT5_lS7_PT6_PKS3_21rocsparse_index_base_b, .Lfunc_end33-_ZN9rocsparseL16sddmm_ell_kernelILi512ELi4EDF16_llDF16_DF16_DF16_EEv20rocsparse_operation_S1_16rocsparse_order_S2_T3_S3_S3_T2_NS_24const_host_device_scalarIT1_EEPKT4_lPKT5_lS7_PT6_PKS3_21rocsparse_index_base_b
                                        ; -- End function
	.set _ZN9rocsparseL16sddmm_ell_kernelILi512ELi4EDF16_llDF16_DF16_DF16_EEv20rocsparse_operation_S1_16rocsparse_order_S2_T3_S3_S3_T2_NS_24const_host_device_scalarIT1_EEPKT4_lPKT5_lS7_PT6_PKS3_21rocsparse_index_base_b.num_vgpr, 18
	.set _ZN9rocsparseL16sddmm_ell_kernelILi512ELi4EDF16_llDF16_DF16_DF16_EEv20rocsparse_operation_S1_16rocsparse_order_S2_T3_S3_S3_T2_NS_24const_host_device_scalarIT1_EEPKT4_lPKT5_lS7_PT6_PKS3_21rocsparse_index_base_b.num_agpr, 0
	.set _ZN9rocsparseL16sddmm_ell_kernelILi512ELi4EDF16_llDF16_DF16_DF16_EEv20rocsparse_operation_S1_16rocsparse_order_S2_T3_S3_S3_T2_NS_24const_host_device_scalarIT1_EEPKT4_lPKT5_lS7_PT6_PKS3_21rocsparse_index_base_b.numbered_sgpr, 24
	.set _ZN9rocsparseL16sddmm_ell_kernelILi512ELi4EDF16_llDF16_DF16_DF16_EEv20rocsparse_operation_S1_16rocsparse_order_S2_T3_S3_S3_T2_NS_24const_host_device_scalarIT1_EEPKT4_lPKT5_lS7_PT6_PKS3_21rocsparse_index_base_b.num_named_barrier, 0
	.set _ZN9rocsparseL16sddmm_ell_kernelILi512ELi4EDF16_llDF16_DF16_DF16_EEv20rocsparse_operation_S1_16rocsparse_order_S2_T3_S3_S3_T2_NS_24const_host_device_scalarIT1_EEPKT4_lPKT5_lS7_PT6_PKS3_21rocsparse_index_base_b.private_seg_size, 0
	.set _ZN9rocsparseL16sddmm_ell_kernelILi512ELi4EDF16_llDF16_DF16_DF16_EEv20rocsparse_operation_S1_16rocsparse_order_S2_T3_S3_S3_T2_NS_24const_host_device_scalarIT1_EEPKT4_lPKT5_lS7_PT6_PKS3_21rocsparse_index_base_b.uses_vcc, 1
	.set _ZN9rocsparseL16sddmm_ell_kernelILi512ELi4EDF16_llDF16_DF16_DF16_EEv20rocsparse_operation_S1_16rocsparse_order_S2_T3_S3_S3_T2_NS_24const_host_device_scalarIT1_EEPKT4_lPKT5_lS7_PT6_PKS3_21rocsparse_index_base_b.uses_flat_scratch, 0
	.set _ZN9rocsparseL16sddmm_ell_kernelILi512ELi4EDF16_llDF16_DF16_DF16_EEv20rocsparse_operation_S1_16rocsparse_order_S2_T3_S3_S3_T2_NS_24const_host_device_scalarIT1_EEPKT4_lPKT5_lS7_PT6_PKS3_21rocsparse_index_base_b.has_dyn_sized_stack, 0
	.set _ZN9rocsparseL16sddmm_ell_kernelILi512ELi4EDF16_llDF16_DF16_DF16_EEv20rocsparse_operation_S1_16rocsparse_order_S2_T3_S3_S3_T2_NS_24const_host_device_scalarIT1_EEPKT4_lPKT5_lS7_PT6_PKS3_21rocsparse_index_base_b.has_recursion, 0
	.set _ZN9rocsparseL16sddmm_ell_kernelILi512ELi4EDF16_llDF16_DF16_DF16_EEv20rocsparse_operation_S1_16rocsparse_order_S2_T3_S3_S3_T2_NS_24const_host_device_scalarIT1_EEPKT4_lPKT5_lS7_PT6_PKS3_21rocsparse_index_base_b.has_indirect_call, 0
	.section	.AMDGPU.csdata,"",@progbits
; Kernel info:
; codeLenInByte = 1724
; TotalNumSgprs: 26
; NumVgprs: 18
; ScratchSize: 0
; MemoryBound: 0
; FloatMode: 240
; IeeeMode: 1
; LDSByteSize: 1024 bytes/workgroup (compile time only)
; SGPRBlocks: 0
; VGPRBlocks: 1
; NumSGPRsForWavesPerEU: 26
; NumVGPRsForWavesPerEU: 18
; NamedBarCnt: 0
; Occupancy: 16
; WaveLimiterHint : 0
; COMPUTE_PGM_RSRC2:SCRATCH_EN: 0
; COMPUTE_PGM_RSRC2:USER_SGPR: 2
; COMPUTE_PGM_RSRC2:TRAP_HANDLER: 0
; COMPUTE_PGM_RSRC2:TGID_X_EN: 1
; COMPUTE_PGM_RSRC2:TGID_Y_EN: 0
; COMPUTE_PGM_RSRC2:TGID_Z_EN: 0
; COMPUTE_PGM_RSRC2:TIDIG_COMP_CNT: 0
	.section	.text._ZN9rocsparseL16sddmm_ell_kernelILi512ELi2EDF16_llDF16_DF16_DF16_EEv20rocsparse_operation_S1_16rocsparse_order_S2_T3_S3_S3_T2_NS_24const_host_device_scalarIT1_EEPKT4_lPKT5_lS7_PT6_PKS3_21rocsparse_index_base_b,"axG",@progbits,_ZN9rocsparseL16sddmm_ell_kernelILi512ELi2EDF16_llDF16_DF16_DF16_EEv20rocsparse_operation_S1_16rocsparse_order_S2_T3_S3_S3_T2_NS_24const_host_device_scalarIT1_EEPKT4_lPKT5_lS7_PT6_PKS3_21rocsparse_index_base_b,comdat
	.globl	_ZN9rocsparseL16sddmm_ell_kernelILi512ELi2EDF16_llDF16_DF16_DF16_EEv20rocsparse_operation_S1_16rocsparse_order_S2_T3_S3_S3_T2_NS_24const_host_device_scalarIT1_EEPKT4_lPKT5_lS7_PT6_PKS3_21rocsparse_index_base_b ; -- Begin function _ZN9rocsparseL16sddmm_ell_kernelILi512ELi2EDF16_llDF16_DF16_DF16_EEv20rocsparse_operation_S1_16rocsparse_order_S2_T3_S3_S3_T2_NS_24const_host_device_scalarIT1_EEPKT4_lPKT5_lS7_PT6_PKS3_21rocsparse_index_base_b
	.p2align	8
	.type	_ZN9rocsparseL16sddmm_ell_kernelILi512ELi2EDF16_llDF16_DF16_DF16_EEv20rocsparse_operation_S1_16rocsparse_order_S2_T3_S3_S3_T2_NS_24const_host_device_scalarIT1_EEPKT4_lPKT5_lS7_PT6_PKS3_21rocsparse_index_base_b,@function
_ZN9rocsparseL16sddmm_ell_kernelILi512ELi2EDF16_llDF16_DF16_DF16_EEv20rocsparse_operation_S1_16rocsparse_order_S2_T3_S3_S3_T2_NS_24const_host_device_scalarIT1_EEPKT4_lPKT5_lS7_PT6_PKS3_21rocsparse_index_base_b: ; @_ZN9rocsparseL16sddmm_ell_kernelILi512ELi2EDF16_llDF16_DF16_DF16_EEv20rocsparse_operation_S1_16rocsparse_order_S2_T3_S3_S3_T2_NS_24const_host_device_scalarIT1_EEPKT4_lPKT5_lS7_PT6_PKS3_21rocsparse_index_base_b
; %bb.0:
	s_clause 0x2
	s_load_b64 s[12:13], s[0:1], 0x70
	s_load_b64 s[2:3], s[0:1], 0x30
	s_load_b128 s[8:11], s[0:1], 0x50
	s_wait_kmcnt 0x0
	s_bitcmp1_b32 s13, 0
	v_mov_b32_e32 v10, s2
	s_cselect_b32 s4, -1, 0
	s_delay_alu instid0(SALU_CYCLE_1)
	s_and_b32 vcc_lo, exec_lo, s4
	s_xor_b32 s4, s4, -1
	s_cbranch_vccnz .LBB34_2
; %bb.1:
	v_mov_b32_e32 v1, 0
	global_load_u16 v10, v1, s[2:3]
.LBB34_2:
	v_mov_b32_e32 v11, s10
	s_and_not1_b32 vcc_lo, exec_lo, s4
	s_cbranch_vccnz .LBB34_4
; %bb.3:
	s_wait_xcnt 0x0
	v_mov_b32_e32 v1, 0
	global_load_u16 v11, v1, s[10:11]
.LBB34_4:
	s_wait_loadcnt 0x0
	v_cmp_eq_f16_e32 vcc_lo, 0, v10
	v_cmp_eq_f16_e64 s2, 1.0, v11
	s_and_b32 s2, vcc_lo, s2
	s_delay_alu instid0(SALU_CYCLE_1)
	s_and_b32 vcc_lo, exec_lo, s2
	s_cbranch_vccnz .LBB34_35
; %bb.5:
	s_load_b128 s[4:7], s[0:1], 0x20
	s_bfe_u32 s2, ttmp6, 0x4000c
	s_and_b32 s3, ttmp6, 15
	s_add_co_i32 s2, s2, 1
	s_getreg_b32 s10, hwreg(HW_REG_IB_STS2, 6, 4)
	s_mul_i32 s2, ttmp9, s2
	v_dual_mov_b32 v3, 0 :: v_dual_lshrrev_b32 v12, 1, v0
	s_add_co_i32 s3, s3, s2
	s_cmp_eq_u32 s10, 0
	s_cselect_b32 s2, ttmp9, s3
	s_delay_alu instid0(VALU_DEP_1) | instid1(SALU_CYCLE_1)
	v_lshl_or_b32 v2, s2, 8, v12
	s_mov_b32 s2, exec_lo
	s_wait_kmcnt 0x0
	s_delay_alu instid0(VALU_DEP_1)
	v_cmpx_gt_i64_e64 s[6:7], v[2:3]
	s_cbranch_execz .LBB34_35
; %bb.6:
	s_load_b64 s[6:7], s[0:1], 0x10
                                        ; implicit-def: $vgpr8_vgpr9
	s_wait_kmcnt 0x0
	s_and_b64 s[2:3], s[6:7], 0xffffffff00000000
	s_delay_alu instid0(SALU_CYCLE_1) | instskip(SKIP_1) | instid1(SALU_CYCLE_1)
	s_cmp_lg_u64 s[2:3], 0
	s_cselect_b32 s2, -1, 0
	s_and_saveexec_b32 s3, s2
	s_delay_alu instid0(SALU_CYCLE_1)
	s_xor_b32 s3, exec_lo, s3
	s_cbranch_execz .LBB34_8
; %bb.7:
	s_ashr_i32 s10, s7, 31
	s_mov_b32 s21, 0
	s_mov_b32 s11, s10
	v_add_nc_u64_e32 v[4:5], 0, v[2:3]
	s_add_nc_u64 s[14:15], s[6:7], s[10:11]
	v_mov_b32_e32 v7, 0
	s_xor_b64 s[10:11], s[14:15], s[10:11]
	s_delay_alu instid0(SALU_CYCLE_1) | instskip(SKIP_3) | instid1(SALU_CYCLE_1)
	s_cvt_f32_u32 s2, s10
	s_cvt_f32_u32 s7, s11
	s_sub_nc_u64 s[16:17], 0, s[10:11]
	v_mov_b32_e32 v6, v4
	s_fmamk_f32 s2, s7, 0x4f800000, s2
	s_delay_alu instid0(SALU_CYCLE_3) | instskip(NEXT) | instid1(TRANS32_DEP_1)
	v_s_rcp_f32 s2, s2
	s_mul_f32 s2, s2, 0x5f7ffffc
	s_delay_alu instid0(SALU_CYCLE_3) | instskip(NEXT) | instid1(SALU_CYCLE_3)
	s_mul_f32 s7, s2, 0x2f800000
	s_trunc_f32 s7, s7
	s_delay_alu instid0(SALU_CYCLE_3) | instskip(SKIP_1) | instid1(SALU_CYCLE_2)
	s_fmamk_f32 s2, s7, 0xcf800000, s2
	s_cvt_u32_f32 s15, s7
	s_cvt_u32_f32 s14, s2
	s_delay_alu instid0(SALU_CYCLE_3) | instskip(NEXT) | instid1(SALU_CYCLE_1)
	s_mul_u64 s[18:19], s[16:17], s[14:15]
	s_mul_hi_u32 s23, s14, s19
	s_mul_i32 s22, s14, s19
	s_mul_hi_u32 s20, s14, s18
	s_mul_i32 s7, s15, s18
	s_add_nc_u64 s[22:23], s[20:21], s[22:23]
	s_mul_hi_u32 s2, s15, s18
	s_mul_hi_u32 s13, s15, s19
	s_add_co_u32 s7, s22, s7
	s_add_co_ci_u32 s20, s23, s2
	s_mul_i32 s18, s15, s19
	s_add_co_ci_u32 s19, s13, 0
	s_delay_alu instid0(SALU_CYCLE_1) | instskip(NEXT) | instid1(SALU_CYCLE_1)
	s_add_nc_u64 s[18:19], s[20:21], s[18:19]
	s_add_co_u32 s14, s14, s18
	s_cselect_b32 s2, -1, 0
	s_delay_alu instid0(SALU_CYCLE_1) | instskip(SKIP_1) | instid1(SALU_CYCLE_1)
	s_cmp_lg_u32 s2, 0
	s_add_co_ci_u32 s15, s15, s19
	s_mul_u64 s[16:17], s[16:17], s[14:15]
	s_delay_alu instid0(SALU_CYCLE_1)
	s_mul_hi_u32 s19, s14, s17
	s_mul_i32 s18, s14, s17
	s_mul_hi_u32 s20, s14, s16
	s_mul_i32 s7, s15, s16
	s_add_nc_u64 s[18:19], s[20:21], s[18:19]
	s_mul_hi_u32 s2, s15, s16
	s_mul_hi_u32 s13, s15, s17
	s_add_co_u32 s7, s18, s7
	s_add_co_ci_u32 s20, s19, s2
	s_mul_i32 s16, s15, s17
	s_add_co_ci_u32 s17, s13, 0
	s_delay_alu instid0(SALU_CYCLE_1) | instskip(NEXT) | instid1(SALU_CYCLE_1)
	s_add_nc_u64 s[16:17], s[20:21], s[16:17]
	s_add_co_u32 s2, s14, s16
	s_cselect_b32 s7, -1, 0
	s_delay_alu instid0(SALU_CYCLE_1)
	s_cmp_lg_u32 s7, 0
	s_add_co_ci_u32 s20, s15, s17
	s_mov_b64 s[14:15], 0xffffffff
	v_mul_u64_e32 v[8:9], s[20:21], v[6:7]
	v_mul_hi_u32 v6, v4, s2
	s_and_b64 s[14:15], s[2:3], s[14:15]
	s_delay_alu instid0(VALU_DEP_1) | instskip(SKIP_1) | instid1(VALU_DEP_1)
	v_add_nc_u64_e32 v[8:9], v[6:7], v[8:9]
	v_mov_b32_e32 v6, v5
	v_mul_u64_e32 v[14:15], s[14:15], v[6:7]
	v_mul_u64_e32 v[16:17], s[20:21], v[6:7]
	s_delay_alu instid0(VALU_DEP_2) | instskip(NEXT) | instid1(VALU_DEP_3)
	v_add_co_u32 v1, vcc_lo, v8, v14
	v_add_co_ci_u32_e32 v6, vcc_lo, v9, v15, vcc_lo
	s_delay_alu instid0(VALU_DEP_3) | instskip(NEXT) | instid1(VALU_DEP_1)
	v_add_co_ci_u32_e32 v17, vcc_lo, 0, v17, vcc_lo
	v_add_nc_u64_e32 v[6:7], v[6:7], v[16:17]
	s_delay_alu instid0(VALU_DEP_1) | instskip(NEXT) | instid1(VALU_DEP_1)
	v_mul_u64_e32 v[6:7], s[10:11], v[6:7]
	v_sub_nc_u32_e32 v1, v5, v7
	s_delay_alu instid0(VALU_DEP_2) | instskip(NEXT) | instid1(VALU_DEP_1)
	v_sub_co_u32 v4, vcc_lo, v4, v6
	v_sub_co_ci_u32_e64 v5, null, v5, v7, vcc_lo
	s_delay_alu instid0(VALU_DEP_3) | instskip(NEXT) | instid1(VALU_DEP_3)
	v_subrev_co_ci_u32_e64 v1, null, s11, v1, vcc_lo
	v_sub_co_u32 v6, vcc_lo, v4, s10
	v_cmp_le_u32_e64 s2, s10, v4
	s_delay_alu instid0(VALU_DEP_3) | instskip(SKIP_1) | instid1(VALU_DEP_3)
	v_subrev_co_ci_u32_e64 v7, null, 0, v1, vcc_lo
	v_subrev_co_ci_u32_e64 v1, null, s11, v1, vcc_lo
	v_cndmask_b32_e64 v8, 0, -1, s2
	v_cmp_le_u32_e64 s2, s10, v6
	v_cmp_le_u32_e32 vcc_lo, s11, v5
	s_delay_alu instid0(VALU_DEP_2) | instskip(SKIP_3) | instid1(VALU_DEP_3)
	v_cndmask_b32_e64 v9, 0, -1, s2
	v_cmp_le_u32_e64 s2, s11, v7
	v_cndmask_b32_e64 v14, 0, -1, vcc_lo
	v_cmp_eq_u32_e32 vcc_lo, s11, v7
	v_cndmask_b32_e64 v13, 0, -1, s2
	v_cmp_eq_u32_e64 s2, s11, v5
	s_delay_alu instid0(VALU_DEP_1) | instskip(SKIP_1) | instid1(VALU_DEP_1)
	v_dual_cndmask_b32 v9, v13, v9, vcc_lo :: v_dual_cndmask_b32 v8, v14, v8, s2
	v_sub_co_u32 v13, vcc_lo, v6, s10
	v_subrev_co_ci_u32_e64 v1, null, 0, v1, vcc_lo
	s_delay_alu instid0(VALU_DEP_3) | instskip(NEXT) | instid1(VALU_DEP_3)
	v_cmp_ne_u32_e32 vcc_lo, 0, v9
	v_cndmask_b32_e32 v6, v6, v13, vcc_lo
	s_delay_alu instid0(VALU_DEP_3) | instskip(SKIP_1) | instid1(VALU_DEP_2)
	v_cndmask_b32_e32 v1, v7, v1, vcc_lo
	v_cmp_ne_u32_e32 vcc_lo, 0, v8
	v_dual_cndmask_b32 v4, v4, v6 :: v_dual_cndmask_b32 v5, v5, v1
	s_delay_alu instid0(VALU_DEP_1)
	v_sub_nc_u64_e64 v[8:9], v[4:5], 0
.LBB34_8:
	s_or_saveexec_b32 s7, s3
	s_load_b64 s[2:3], s[0:1], 0x68
	s_xor_b32 exec_lo, exec_lo, s7
	s_cbranch_execz .LBB34_10
; %bb.9:
	v_cvt_f32_u32_e32 v1, s6
	s_sub_co_i32 s10, 0, s6
	v_mov_b32_e32 v9, 0
	s_delay_alu instid0(VALU_DEP_2) | instskip(SKIP_1) | instid1(TRANS32_DEP_1)
	v_rcp_iflag_f32_e32 v1, v1
	v_nop
	v_mul_f32_e32 v1, 0x4f7ffffe, v1
	s_delay_alu instid0(VALU_DEP_1) | instskip(NEXT) | instid1(VALU_DEP_1)
	v_cvt_u32_f32_e32 v1, v1
	v_mul_lo_u32 v4, s10, v1
	s_delay_alu instid0(VALU_DEP_1) | instskip(NEXT) | instid1(VALU_DEP_1)
	v_mul_hi_u32 v4, v1, v4
	v_add_nc_u32_e32 v1, v1, v4
	s_delay_alu instid0(VALU_DEP_1) | instskip(NEXT) | instid1(VALU_DEP_1)
	v_mul_hi_u32 v1, v2, v1
	v_mul_lo_u32 v1, v1, s6
	s_delay_alu instid0(VALU_DEP_1) | instskip(NEXT) | instid1(VALU_DEP_1)
	v_sub_nc_u32_e32 v1, v2, v1
	v_subrev_nc_u32_e32 v4, s6, v1
	v_cmp_le_u32_e32 vcc_lo, s6, v1
	s_delay_alu instid0(VALU_DEP_2) | instskip(NEXT) | instid1(VALU_DEP_1)
	v_cndmask_b32_e32 v1, v1, v4, vcc_lo
	v_subrev_nc_u32_e32 v4, s6, v1
	v_cmp_le_u32_e32 vcc_lo, s6, v1
	s_delay_alu instid0(VALU_DEP_2)
	v_cndmask_b32_e32 v8, v1, v4, vcc_lo
.LBB34_10:
	s_or_b32 exec_lo, exec_lo, s7
	s_wait_kmcnt 0x0
	v_lshl_add_u64 v[4:5], v[2:3], 3, s[2:3]
	s_mov_b32 s13, 0
	global_load_b64 v[4:5], v[4:5], off
	s_wait_loadcnt 0x0
	v_sub_nc_u64_e64 v[6:7], v[4:5], s[12:13]
	s_delay_alu instid0(VALU_DEP_1)
	v_cmp_lt_i64_e32 vcc_lo, -1, v[6:7]
	s_and_b32 exec_lo, exec_lo, vcc_lo
	s_cbranch_execz .LBB34_35
; %bb.11:
	s_clause 0x1
	s_load_b128 s[12:15], s[0:1], 0x0
	s_load_b64 s[2:3], s[0:1], 0x40
	s_wait_kmcnt 0x0
	s_cmp_eq_u32 s14, 1
	s_cselect_b32 s6, -1, 0
	s_cmp_eq_u32 s12, 0x6f
	s_cselect_b32 s7, -1, 0
	s_cmp_lg_u32 s12, 0x6f
	s_cselect_b32 s10, -1, 0
	s_cmp_lg_u32 s14, 1
	s_cbranch_scc0 .LBB34_15
; %bb.12:
	v_mov_b64_e32 v[4:5], v[8:9]
	s_and_not1_b32 vcc_lo, exec_lo, s7
	s_cbranch_vccnz .LBB34_14
; %bb.13:
	v_mul_u64_e32 v[4:5], s[2:3], v[8:9]
.LBB34_14:
	s_cbranch_execz .LBB34_16
	s_branch .LBB34_19
.LBB34_15:
                                        ; implicit-def: $vgpr4_vgpr5
.LBB34_16:
	s_and_not1_b32 vcc_lo, exec_lo, s10
	s_cbranch_vccnz .LBB34_18
; %bb.17:
	v_mul_u64_e32 v[8:9], s[2:3], v[8:9]
.LBB34_18:
	s_delay_alu instid0(VALU_DEP_1)
	v_mov_b64_e32 v[4:5], v[8:9]
.LBB34_19:
	s_cmp_eq_u32 s15, 1
	s_cselect_b32 s11, -1, 0
	s_cmp_eq_u32 s13, 0x6f
	s_cselect_b32 s12, -1, 0
	s_cmp_lg_u32 s13, 0x6f
	s_cselect_b32 s10, -1, 0
	s_cmp_lg_u32 s15, 1
	s_cbranch_scc0 .LBB34_23
; %bb.20:
	v_mov_b64_e32 v[8:9], v[6:7]
	s_and_not1_b32 vcc_lo, exec_lo, s10
	s_cbranch_vccnz .LBB34_22
; %bb.21:
	v_mul_u64_e32 v[8:9], s[8:9], v[6:7]
.LBB34_22:
	s_cbranch_execz .LBB34_24
	s_branch .LBB34_27
.LBB34_23:
                                        ; implicit-def: $vgpr8_vgpr9
.LBB34_24:
	s_and_not1_b32 vcc_lo, exec_lo, s12
	s_cbranch_vccnz .LBB34_26
; %bb.25:
	v_mul_u64_e32 v[6:7], s[8:9], v[6:7]
.LBB34_26:
	s_delay_alu instid0(VALU_DEP_1)
	v_mov_b64_e32 v[8:9], v[6:7]
.LBB34_27:
	v_dual_mov_b32 v1, 0 :: v_dual_bitop2_b32 v0, 1, v0 bitop3:0x40
	s_mov_b32 s10, exec_lo
	s_delay_alu instid0(VALU_DEP_1)
	v_cmpx_gt_i64_e64 s[4:5], v[0:1]
	s_cbranch_execz .LBB34_31
; %bb.28:
	s_xor_b32 s6, s7, s6
	s_delay_alu instid0(VALU_DEP_3)
	v_lshlrev_b64_e32 v[8:9], 1, v[8:9]
	s_and_b32 s6, s6, exec_lo
	s_cselect_b32 s7, 0, s3
	s_cselect_b32 s6, 1, s2
	s_xor_b32 s2, s12, s11
	v_mul_u64_e32 v[14:15], s[6:7], v[0:1]
	s_and_b32 s2, s2, exec_lo
	s_cselect_b32 s3, s9, 0
	s_cselect_b32 s2, s8, 1
	s_clause 0x1
	s_load_b64 s[8:9], s[0:1], 0x48
	s_load_b64 s[12:13], s[0:1], 0x38
	v_mul_u64_e32 v[6:7], s[2:3], v[0:1]
	v_lshlrev_b64_e32 v[4:5], 1, v[4:5]
	v_mov_b32_e32 v13, 0
	s_lshl_b64 s[2:3], s[2:3], 2
	s_lshl_b64 s[6:7], s[6:7], 2
	s_delay_alu instid0(VALU_DEP_3) | instskip(NEXT) | instid1(VALU_DEP_3)
	v_lshl_add_u64 v[6:7], v[6:7], 1, v[8:9]
	v_lshl_add_u64 v[8:9], v[14:15], 1, v[4:5]
	s_wait_kmcnt 0x0
	s_delay_alu instid0(VALU_DEP_2) | instskip(NEXT) | instid1(VALU_DEP_2)
	v_add_nc_u64_e32 v[4:5], s[8:9], v[6:7]
	v_add_nc_u64_e32 v[6:7], s[12:13], v[8:9]
	v_mov_b64_e32 v[8:9], v[0:1]
	v_mov_b32_e32 v1, v13
	s_mov_b32 s8, 0
.LBB34_29:                              ; =>This Inner Loop Header: Depth=1
	global_load_u16 v13, v[6:7], off
	global_load_u16 v14, v[4:5], off
	v_add_nc_u64_e32 v[8:9], 2, v[8:9]
	s_wait_xcnt 0x0
	v_add_nc_u64_e32 v[4:5], s[2:3], v[4:5]
	v_add_nc_u64_e32 v[6:7], s[6:7], v[6:7]
	s_delay_alu instid0(VALU_DEP_3)
	v_cmp_le_i64_e32 vcc_lo, s[4:5], v[8:9]
	s_or_b32 s8, vcc_lo, s8
	s_wait_loadcnt 0x0
	v_fmac_f16_e32 v1, v13, v14
	s_and_not1_b32 exec_lo, exec_lo, s8
	s_cbranch_execnz .LBB34_29
; %bb.30:
	s_or_b32 exec_lo, exec_lo, s8
.LBB34_31:
	s_delay_alu instid0(SALU_CYCLE_1) | instskip(SKIP_3) | instid1(VALU_DEP_2)
	s_or_b32 exec_lo, exec_lo, s10
	s_load_b64 s[0:1], s[0:1], 0x60
	v_lshlrev_b32_e32 v4, 2, v12
	v_cmp_eq_u32_e32 vcc_lo, 0, v0
	v_lshl_or_b32 v5, v0, 1, v4
	ds_store_b16 v5, v1
	s_wait_dscnt 0x0
	s_barrier_signal -1
	s_barrier_wait -1
	s_and_saveexec_b32 s2, vcc_lo
	s_cbranch_execz .LBB34_33
; %bb.32:
	ds_load_u16 v0, v4 offset:2
	ds_load_u16 v1, v5
	s_wait_dscnt 0x0
	v_add_f16_e32 v0, v0, v1
	ds_store_b16 v5, v0
.LBB34_33:
	s_or_b32 exec_lo, exec_lo, s2
	s_wait_dscnt 0x0
	s_barrier_signal -1
	s_barrier_wait -1
	s_and_b32 exec_lo, exec_lo, vcc_lo
	s_cbranch_execz .LBB34_35
; %bb.34:
	s_wait_kmcnt 0x0
	v_lshl_add_u64 v[0:1], v[2:3], 1, s[0:1]
	ds_load_u16 v3, v4
	global_load_u16 v2, v[0:1], off
	s_wait_dscnt 0x0
	v_mul_f16_e32 v3, v10, v3
	s_wait_loadcnt 0x0
	s_delay_alu instid0(VALU_DEP_1)
	v_fmac_f16_e32 v3, v11, v2
	global_store_b16 v[0:1], v3, off
.LBB34_35:
	s_endpgm
	.section	.rodata,"a",@progbits
	.p2align	6, 0x0
	.amdhsa_kernel _ZN9rocsparseL16sddmm_ell_kernelILi512ELi2EDF16_llDF16_DF16_DF16_EEv20rocsparse_operation_S1_16rocsparse_order_S2_T3_S3_S3_T2_NS_24const_host_device_scalarIT1_EEPKT4_lPKT5_lS7_PT6_PKS3_21rocsparse_index_base_b
		.amdhsa_group_segment_fixed_size 1024
		.amdhsa_private_segment_fixed_size 0
		.amdhsa_kernarg_size 120
		.amdhsa_user_sgpr_count 2
		.amdhsa_user_sgpr_dispatch_ptr 0
		.amdhsa_user_sgpr_queue_ptr 0
		.amdhsa_user_sgpr_kernarg_segment_ptr 1
		.amdhsa_user_sgpr_dispatch_id 0
		.amdhsa_user_sgpr_kernarg_preload_length 0
		.amdhsa_user_sgpr_kernarg_preload_offset 0
		.amdhsa_user_sgpr_private_segment_size 0
		.amdhsa_wavefront_size32 1
		.amdhsa_uses_dynamic_stack 0
		.amdhsa_enable_private_segment 0
		.amdhsa_system_sgpr_workgroup_id_x 1
		.amdhsa_system_sgpr_workgroup_id_y 0
		.amdhsa_system_sgpr_workgroup_id_z 0
		.amdhsa_system_sgpr_workgroup_info 0
		.amdhsa_system_vgpr_workitem_id 0
		.amdhsa_next_free_vgpr 18
		.amdhsa_next_free_sgpr 24
		.amdhsa_named_barrier_count 0
		.amdhsa_reserve_vcc 1
		.amdhsa_float_round_mode_32 0
		.amdhsa_float_round_mode_16_64 0
		.amdhsa_float_denorm_mode_32 3
		.amdhsa_float_denorm_mode_16_64 3
		.amdhsa_fp16_overflow 0
		.amdhsa_memory_ordered 1
		.amdhsa_forward_progress 1
		.amdhsa_inst_pref_size 13
		.amdhsa_round_robin_scheduling 0
		.amdhsa_exception_fp_ieee_invalid_op 0
		.amdhsa_exception_fp_denorm_src 0
		.amdhsa_exception_fp_ieee_div_zero 0
		.amdhsa_exception_fp_ieee_overflow 0
		.amdhsa_exception_fp_ieee_underflow 0
		.amdhsa_exception_fp_ieee_inexact 0
		.amdhsa_exception_int_div_zero 0
	.end_amdhsa_kernel
	.section	.text._ZN9rocsparseL16sddmm_ell_kernelILi512ELi2EDF16_llDF16_DF16_DF16_EEv20rocsparse_operation_S1_16rocsparse_order_S2_T3_S3_S3_T2_NS_24const_host_device_scalarIT1_EEPKT4_lPKT5_lS7_PT6_PKS3_21rocsparse_index_base_b,"axG",@progbits,_ZN9rocsparseL16sddmm_ell_kernelILi512ELi2EDF16_llDF16_DF16_DF16_EEv20rocsparse_operation_S1_16rocsparse_order_S2_T3_S3_S3_T2_NS_24const_host_device_scalarIT1_EEPKT4_lPKT5_lS7_PT6_PKS3_21rocsparse_index_base_b,comdat
.Lfunc_end34:
	.size	_ZN9rocsparseL16sddmm_ell_kernelILi512ELi2EDF16_llDF16_DF16_DF16_EEv20rocsparse_operation_S1_16rocsparse_order_S2_T3_S3_S3_T2_NS_24const_host_device_scalarIT1_EEPKT4_lPKT5_lS7_PT6_PKS3_21rocsparse_index_base_b, .Lfunc_end34-_ZN9rocsparseL16sddmm_ell_kernelILi512ELi2EDF16_llDF16_DF16_DF16_EEv20rocsparse_operation_S1_16rocsparse_order_S2_T3_S3_S3_T2_NS_24const_host_device_scalarIT1_EEPKT4_lPKT5_lS7_PT6_PKS3_21rocsparse_index_base_b
                                        ; -- End function
	.set _ZN9rocsparseL16sddmm_ell_kernelILi512ELi2EDF16_llDF16_DF16_DF16_EEv20rocsparse_operation_S1_16rocsparse_order_S2_T3_S3_S3_T2_NS_24const_host_device_scalarIT1_EEPKT4_lPKT5_lS7_PT6_PKS3_21rocsparse_index_base_b.num_vgpr, 18
	.set _ZN9rocsparseL16sddmm_ell_kernelILi512ELi2EDF16_llDF16_DF16_DF16_EEv20rocsparse_operation_S1_16rocsparse_order_S2_T3_S3_S3_T2_NS_24const_host_device_scalarIT1_EEPKT4_lPKT5_lS7_PT6_PKS3_21rocsparse_index_base_b.num_agpr, 0
	.set _ZN9rocsparseL16sddmm_ell_kernelILi512ELi2EDF16_llDF16_DF16_DF16_EEv20rocsparse_operation_S1_16rocsparse_order_S2_T3_S3_S3_T2_NS_24const_host_device_scalarIT1_EEPKT4_lPKT5_lS7_PT6_PKS3_21rocsparse_index_base_b.numbered_sgpr, 24
	.set _ZN9rocsparseL16sddmm_ell_kernelILi512ELi2EDF16_llDF16_DF16_DF16_EEv20rocsparse_operation_S1_16rocsparse_order_S2_T3_S3_S3_T2_NS_24const_host_device_scalarIT1_EEPKT4_lPKT5_lS7_PT6_PKS3_21rocsparse_index_base_b.num_named_barrier, 0
	.set _ZN9rocsparseL16sddmm_ell_kernelILi512ELi2EDF16_llDF16_DF16_DF16_EEv20rocsparse_operation_S1_16rocsparse_order_S2_T3_S3_S3_T2_NS_24const_host_device_scalarIT1_EEPKT4_lPKT5_lS7_PT6_PKS3_21rocsparse_index_base_b.private_seg_size, 0
	.set _ZN9rocsparseL16sddmm_ell_kernelILi512ELi2EDF16_llDF16_DF16_DF16_EEv20rocsparse_operation_S1_16rocsparse_order_S2_T3_S3_S3_T2_NS_24const_host_device_scalarIT1_EEPKT4_lPKT5_lS7_PT6_PKS3_21rocsparse_index_base_b.uses_vcc, 1
	.set _ZN9rocsparseL16sddmm_ell_kernelILi512ELi2EDF16_llDF16_DF16_DF16_EEv20rocsparse_operation_S1_16rocsparse_order_S2_T3_S3_S3_T2_NS_24const_host_device_scalarIT1_EEPKT4_lPKT5_lS7_PT6_PKS3_21rocsparse_index_base_b.uses_flat_scratch, 0
	.set _ZN9rocsparseL16sddmm_ell_kernelILi512ELi2EDF16_llDF16_DF16_DF16_EEv20rocsparse_operation_S1_16rocsparse_order_S2_T3_S3_S3_T2_NS_24const_host_device_scalarIT1_EEPKT4_lPKT5_lS7_PT6_PKS3_21rocsparse_index_base_b.has_dyn_sized_stack, 0
	.set _ZN9rocsparseL16sddmm_ell_kernelILi512ELi2EDF16_llDF16_DF16_DF16_EEv20rocsparse_operation_S1_16rocsparse_order_S2_T3_S3_S3_T2_NS_24const_host_device_scalarIT1_EEPKT4_lPKT5_lS7_PT6_PKS3_21rocsparse_index_base_b.has_recursion, 0
	.set _ZN9rocsparseL16sddmm_ell_kernelILi512ELi2EDF16_llDF16_DF16_DF16_EEv20rocsparse_operation_S1_16rocsparse_order_S2_T3_S3_S3_T2_NS_24const_host_device_scalarIT1_EEPKT4_lPKT5_lS7_PT6_PKS3_21rocsparse_index_base_b.has_indirect_call, 0
	.section	.AMDGPU.csdata,"",@progbits
; Kernel info:
; codeLenInByte = 1664
; TotalNumSgprs: 26
; NumVgprs: 18
; ScratchSize: 0
; MemoryBound: 0
; FloatMode: 240
; IeeeMode: 1
; LDSByteSize: 1024 bytes/workgroup (compile time only)
; SGPRBlocks: 0
; VGPRBlocks: 1
; NumSGPRsForWavesPerEU: 26
; NumVGPRsForWavesPerEU: 18
; NamedBarCnt: 0
; Occupancy: 16
; WaveLimiterHint : 0
; COMPUTE_PGM_RSRC2:SCRATCH_EN: 0
; COMPUTE_PGM_RSRC2:USER_SGPR: 2
; COMPUTE_PGM_RSRC2:TRAP_HANDLER: 0
; COMPUTE_PGM_RSRC2:TGID_X_EN: 1
; COMPUTE_PGM_RSRC2:TGID_Y_EN: 0
; COMPUTE_PGM_RSRC2:TGID_Z_EN: 0
; COMPUTE_PGM_RSRC2:TIDIG_COMP_CNT: 0
	.section	.text._ZN9rocsparseL16sddmm_ell_kernelILi512ELi1EDF16_llDF16_DF16_DF16_EEv20rocsparse_operation_S1_16rocsparse_order_S2_T3_S3_S3_T2_NS_24const_host_device_scalarIT1_EEPKT4_lPKT5_lS7_PT6_PKS3_21rocsparse_index_base_b,"axG",@progbits,_ZN9rocsparseL16sddmm_ell_kernelILi512ELi1EDF16_llDF16_DF16_DF16_EEv20rocsparse_operation_S1_16rocsparse_order_S2_T3_S3_S3_T2_NS_24const_host_device_scalarIT1_EEPKT4_lPKT5_lS7_PT6_PKS3_21rocsparse_index_base_b,comdat
	.globl	_ZN9rocsparseL16sddmm_ell_kernelILi512ELi1EDF16_llDF16_DF16_DF16_EEv20rocsparse_operation_S1_16rocsparse_order_S2_T3_S3_S3_T2_NS_24const_host_device_scalarIT1_EEPKT4_lPKT5_lS7_PT6_PKS3_21rocsparse_index_base_b ; -- Begin function _ZN9rocsparseL16sddmm_ell_kernelILi512ELi1EDF16_llDF16_DF16_DF16_EEv20rocsparse_operation_S1_16rocsparse_order_S2_T3_S3_S3_T2_NS_24const_host_device_scalarIT1_EEPKT4_lPKT5_lS7_PT6_PKS3_21rocsparse_index_base_b
	.p2align	8
	.type	_ZN9rocsparseL16sddmm_ell_kernelILi512ELi1EDF16_llDF16_DF16_DF16_EEv20rocsparse_operation_S1_16rocsparse_order_S2_T3_S3_S3_T2_NS_24const_host_device_scalarIT1_EEPKT4_lPKT5_lS7_PT6_PKS3_21rocsparse_index_base_b,@function
_ZN9rocsparseL16sddmm_ell_kernelILi512ELi1EDF16_llDF16_DF16_DF16_EEv20rocsparse_operation_S1_16rocsparse_order_S2_T3_S3_S3_T2_NS_24const_host_device_scalarIT1_EEPKT4_lPKT5_lS7_PT6_PKS3_21rocsparse_index_base_b: ; @_ZN9rocsparseL16sddmm_ell_kernelILi512ELi1EDF16_llDF16_DF16_DF16_EEv20rocsparse_operation_S1_16rocsparse_order_S2_T3_S3_S3_T2_NS_24const_host_device_scalarIT1_EEPKT4_lPKT5_lS7_PT6_PKS3_21rocsparse_index_base_b
; %bb.0:
	s_clause 0x2
	s_load_b64 s[12:13], s[0:1], 0x70
	s_load_b64 s[2:3], s[0:1], 0x30
	s_load_b128 s[4:7], s[0:1], 0x50
	s_wait_kmcnt 0x0
	s_bitcmp1_b32 s13, 0
	v_mov_b32_e32 v1, s2
	s_cselect_b32 s8, -1, 0
	s_delay_alu instid0(SALU_CYCLE_1)
	s_and_b32 vcc_lo, exec_lo, s8
	s_xor_b32 s8, s8, -1
	s_cbranch_vccnz .LBB35_2
; %bb.1:
	v_mov_b32_e32 v1, 0
	global_load_u16 v1, v1, s[2:3]
.LBB35_2:
	v_mov_b32_e32 v10, s6
	s_and_not1_b32 vcc_lo, exec_lo, s8
	s_cbranch_vccnz .LBB35_4
; %bb.3:
	v_mov_b32_e32 v2, 0
	global_load_u16 v10, v2, s[6:7]
.LBB35_4:
	s_wait_loadcnt 0x0
	v_cmp_eq_f16_e32 vcc_lo, 0, v1
	v_cmp_eq_f16_e64 s2, 1.0, v10
	s_and_b32 s2, vcc_lo, s2
	s_delay_alu instid0(SALU_CYCLE_1)
	s_and_b32 vcc_lo, exec_lo, s2
	s_cbranch_vccnz .LBB35_32
; %bb.5:
	s_load_b128 s[8:11], s[0:1], 0x20
	s_bfe_u32 s2, ttmp6, 0x4000c
	s_and_b32 s3, ttmp6, 15
	s_add_co_i32 s2, s2, 1
	s_getreg_b32 s6, hwreg(HW_REG_IB_STS2, 6, 4)
	s_mul_i32 s2, ttmp9, s2
	v_mov_b32_e32 v3, 0
	s_add_co_i32 s3, s3, s2
	s_cmp_eq_u32 s6, 0
	s_cselect_b32 s2, ttmp9, s3
	s_delay_alu instid0(SALU_CYCLE_1) | instskip(SKIP_2) | instid1(VALU_DEP_1)
	v_lshl_or_b32 v2, s2, 9, v0
	s_mov_b32 s2, exec_lo
	s_wait_kmcnt 0x0
	v_cmpx_gt_i64_e64 s[10:11], v[2:3]
	s_cbranch_execz .LBB35_32
; %bb.6:
	s_load_b64 s[6:7], s[0:1], 0x10
                                        ; implicit-def: $vgpr8_vgpr9
	s_wait_kmcnt 0x0
	s_and_b64 s[2:3], s[6:7], 0xffffffff00000000
	s_delay_alu instid0(SALU_CYCLE_1) | instskip(SKIP_1) | instid1(SALU_CYCLE_1)
	s_cmp_lg_u64 s[2:3], 0
	s_cselect_b32 s2, -1, 0
	s_and_saveexec_b32 s3, s2
	s_delay_alu instid0(SALU_CYCLE_1)
	s_xor_b32 s3, exec_lo, s3
	s_cbranch_execz .LBB35_8
; %bb.7:
	s_ashr_i32 s10, s7, 31
	s_mov_b32 s21, 0
	s_mov_b32 s11, s10
	v_add_nc_u64_e32 v[4:5], 0, v[2:3]
	s_add_nc_u64 s[14:15], s[6:7], s[10:11]
	v_mov_b32_e32 v7, 0
	s_xor_b64 s[10:11], s[14:15], s[10:11]
	s_delay_alu instid0(SALU_CYCLE_1) | instskip(SKIP_3) | instid1(SALU_CYCLE_1)
	s_cvt_f32_u32 s2, s10
	s_cvt_f32_u32 s7, s11
	s_sub_nc_u64 s[16:17], 0, s[10:11]
	v_mov_b32_e32 v6, v4
	s_fmamk_f32 s2, s7, 0x4f800000, s2
	s_delay_alu instid0(SALU_CYCLE_3) | instskip(NEXT) | instid1(TRANS32_DEP_1)
	v_s_rcp_f32 s2, s2
	s_mul_f32 s2, s2, 0x5f7ffffc
	s_delay_alu instid0(SALU_CYCLE_3) | instskip(NEXT) | instid1(SALU_CYCLE_3)
	s_mul_f32 s7, s2, 0x2f800000
	s_trunc_f32 s7, s7
	s_delay_alu instid0(SALU_CYCLE_3) | instskip(SKIP_1) | instid1(SALU_CYCLE_2)
	s_fmamk_f32 s2, s7, 0xcf800000, s2
	s_cvt_u32_f32 s15, s7
	s_cvt_u32_f32 s14, s2
	s_delay_alu instid0(SALU_CYCLE_3) | instskip(NEXT) | instid1(SALU_CYCLE_1)
	s_mul_u64 s[18:19], s[16:17], s[14:15]
	s_mul_hi_u32 s23, s14, s19
	s_mul_i32 s22, s14, s19
	s_mul_hi_u32 s20, s14, s18
	s_mul_i32 s7, s15, s18
	s_add_nc_u64 s[22:23], s[20:21], s[22:23]
	s_mul_hi_u32 s2, s15, s18
	s_mul_hi_u32 s13, s15, s19
	s_add_co_u32 s7, s22, s7
	s_add_co_ci_u32 s20, s23, s2
	s_mul_i32 s18, s15, s19
	s_add_co_ci_u32 s19, s13, 0
	s_delay_alu instid0(SALU_CYCLE_1) | instskip(NEXT) | instid1(SALU_CYCLE_1)
	s_add_nc_u64 s[18:19], s[20:21], s[18:19]
	s_add_co_u32 s14, s14, s18
	s_cselect_b32 s2, -1, 0
	s_delay_alu instid0(SALU_CYCLE_1) | instskip(SKIP_1) | instid1(SALU_CYCLE_1)
	s_cmp_lg_u32 s2, 0
	s_add_co_ci_u32 s15, s15, s19
	s_mul_u64 s[16:17], s[16:17], s[14:15]
	s_delay_alu instid0(SALU_CYCLE_1)
	s_mul_hi_u32 s19, s14, s17
	s_mul_i32 s18, s14, s17
	s_mul_hi_u32 s20, s14, s16
	s_mul_i32 s7, s15, s16
	s_add_nc_u64 s[18:19], s[20:21], s[18:19]
	s_mul_hi_u32 s2, s15, s16
	s_mul_hi_u32 s13, s15, s17
	s_add_co_u32 s7, s18, s7
	s_add_co_ci_u32 s20, s19, s2
	s_mul_i32 s16, s15, s17
	s_add_co_ci_u32 s17, s13, 0
	s_delay_alu instid0(SALU_CYCLE_1) | instskip(NEXT) | instid1(SALU_CYCLE_1)
	s_add_nc_u64 s[16:17], s[20:21], s[16:17]
	s_add_co_u32 s2, s14, s16
	s_cselect_b32 s7, -1, 0
	s_delay_alu instid0(SALU_CYCLE_1)
	s_cmp_lg_u32 s7, 0
	s_add_co_ci_u32 s20, s15, s17
	s_mov_b64 s[14:15], 0xffffffff
	v_mul_u64_e32 v[8:9], s[20:21], v[6:7]
	v_mul_hi_u32 v6, v4, s2
	s_and_b64 s[14:15], s[2:3], s[14:15]
	s_delay_alu instid0(VALU_DEP_1) | instskip(SKIP_1) | instid1(VALU_DEP_1)
	v_add_nc_u64_e32 v[8:9], v[6:7], v[8:9]
	v_mov_b32_e32 v6, v5
	v_mul_u64_e32 v[12:13], s[14:15], v[6:7]
	v_mul_u64_e32 v[14:15], s[20:21], v[6:7]
	s_delay_alu instid0(VALU_DEP_2) | instskip(NEXT) | instid1(VALU_DEP_3)
	v_add_co_u32 v6, vcc_lo, v8, v12
	v_add_co_ci_u32_e32 v6, vcc_lo, v9, v13, vcc_lo
	s_delay_alu instid0(VALU_DEP_3) | instskip(NEXT) | instid1(VALU_DEP_1)
	v_add_co_ci_u32_e32 v15, vcc_lo, 0, v15, vcc_lo
	v_add_nc_u64_e32 v[6:7], v[6:7], v[14:15]
	s_delay_alu instid0(VALU_DEP_1) | instskip(NEXT) | instid1(VALU_DEP_1)
	v_mul_u64_e32 v[6:7], s[10:11], v[6:7]
	v_sub_nc_u32_e32 v8, v5, v7
	s_delay_alu instid0(VALU_DEP_2) | instskip(NEXT) | instid1(VALU_DEP_1)
	v_sub_co_u32 v4, vcc_lo, v4, v6
	v_sub_co_ci_u32_e64 v5, null, v5, v7, vcc_lo
	s_delay_alu instid0(VALU_DEP_3) | instskip(NEXT) | instid1(VALU_DEP_3)
	v_subrev_co_ci_u32_e64 v6, null, s11, v8, vcc_lo
	v_sub_co_u32 v7, vcc_lo, v4, s10
	v_cmp_le_u32_e64 s2, s10, v4
	s_delay_alu instid0(VALU_DEP_3) | instskip(SKIP_1) | instid1(VALU_DEP_3)
	v_subrev_co_ci_u32_e64 v8, null, 0, v6, vcc_lo
	v_subrev_co_ci_u32_e64 v6, null, s11, v6, vcc_lo
	v_cndmask_b32_e64 v9, 0, -1, s2
	v_cmp_le_u32_e64 s2, s10, v7
	v_cmp_le_u32_e32 vcc_lo, s11, v5
	s_delay_alu instid0(VALU_DEP_2) | instskip(SKIP_3) | instid1(VALU_DEP_3)
	v_cndmask_b32_e64 v11, 0, -1, s2
	v_cmp_le_u32_e64 s2, s11, v8
	v_cndmask_b32_e64 v13, 0, -1, vcc_lo
	v_cmp_eq_u32_e32 vcc_lo, s11, v8
	v_cndmask_b32_e64 v12, 0, -1, s2
	v_cmp_eq_u32_e64 s2, s11, v5
	s_delay_alu instid0(VALU_DEP_1) | instskip(SKIP_1) | instid1(VALU_DEP_1)
	v_dual_cndmask_b32 v11, v12, v11, vcc_lo :: v_dual_cndmask_b32 v9, v13, v9, s2
	v_sub_co_u32 v12, vcc_lo, v7, s10
	v_subrev_co_ci_u32_e64 v6, null, 0, v6, vcc_lo
	s_delay_alu instid0(VALU_DEP_3) | instskip(NEXT) | instid1(VALU_DEP_2)
	v_cmp_ne_u32_e32 vcc_lo, 0, v11
	v_dual_cndmask_b32 v6, v8, v6 :: v_dual_cndmask_b32 v7, v7, v12
	v_cmp_ne_u32_e32 vcc_lo, 0, v9
	s_delay_alu instid0(VALU_DEP_2) | instskip(NEXT) | instid1(VALU_DEP_1)
	v_dual_cndmask_b32 v5, v5, v6 :: v_dual_cndmask_b32 v4, v4, v7
	v_sub_nc_u64_e64 v[8:9], v[4:5], 0
.LBB35_8:
	s_or_saveexec_b32 s7, s3
	s_load_b64 s[2:3], s[0:1], 0x68
	s_xor_b32 exec_lo, exec_lo, s7
	s_cbranch_execz .LBB35_10
; %bb.9:
	v_cvt_f32_u32_e32 v4, s6
	s_sub_co_i32 s10, 0, s6
	v_mov_b32_e32 v9, 0
	s_delay_alu instid0(VALU_DEP_2) | instskip(SKIP_1) | instid1(TRANS32_DEP_1)
	v_rcp_iflag_f32_e32 v4, v4
	v_nop
	v_mul_f32_e32 v4, 0x4f7ffffe, v4
	s_delay_alu instid0(VALU_DEP_1) | instskip(NEXT) | instid1(VALU_DEP_1)
	v_cvt_u32_f32_e32 v4, v4
	v_mul_lo_u32 v5, s10, v4
	s_delay_alu instid0(VALU_DEP_1) | instskip(NEXT) | instid1(VALU_DEP_1)
	v_mul_hi_u32 v5, v4, v5
	v_add_nc_u32_e32 v4, v4, v5
	s_delay_alu instid0(VALU_DEP_1) | instskip(NEXT) | instid1(VALU_DEP_1)
	v_mul_hi_u32 v4, v2, v4
	v_mul_lo_u32 v4, v4, s6
	s_delay_alu instid0(VALU_DEP_1) | instskip(NEXT) | instid1(VALU_DEP_1)
	v_sub_nc_u32_e32 v4, v2, v4
	v_subrev_nc_u32_e32 v5, s6, v4
	v_cmp_le_u32_e32 vcc_lo, s6, v4
	s_delay_alu instid0(VALU_DEP_2) | instskip(NEXT) | instid1(VALU_DEP_1)
	v_cndmask_b32_e32 v4, v4, v5, vcc_lo
	v_subrev_nc_u32_e32 v5, s6, v4
	v_cmp_le_u32_e32 vcc_lo, s6, v4
	s_delay_alu instid0(VALU_DEP_2)
	v_cndmask_b32_e32 v8, v4, v5, vcc_lo
.LBB35_10:
	s_or_b32 exec_lo, exec_lo, s7
	s_wait_kmcnt 0x0
	v_lshl_add_u64 v[4:5], v[2:3], 3, s[2:3]
	s_mov_b32 s13, 0
	global_load_b64 v[4:5], v[4:5], off
	s_wait_loadcnt 0x0
	v_sub_nc_u64_e64 v[4:5], v[4:5], s[12:13]
	s_delay_alu instid0(VALU_DEP_1)
	v_cmp_lt_i64_e32 vcc_lo, -1, v[4:5]
	s_and_b32 exec_lo, exec_lo, vcc_lo
	s_cbranch_execz .LBB35_32
; %bb.11:
	s_clause 0x1
	s_load_b128 s[12:15], s[0:1], 0x0
	s_load_b64 s[2:3], s[0:1], 0x40
	s_wait_kmcnt 0x0
	s_cmp_eq_u32 s14, 1
	s_cselect_b32 s6, -1, 0
	s_cmp_eq_u32 s12, 0x6f
	s_cselect_b32 s7, -1, 0
	s_cmp_lg_u32 s12, 0x6f
	s_cselect_b32 s10, -1, 0
	s_cmp_lg_u32 s14, 1
	s_cbranch_scc0 .LBB35_15
; %bb.12:
	v_mov_b64_e32 v[6:7], v[8:9]
	s_and_not1_b32 vcc_lo, exec_lo, s7
	s_cbranch_vccnz .LBB35_14
; %bb.13:
	v_mul_u64_e32 v[6:7], s[2:3], v[8:9]
.LBB35_14:
	s_cbranch_execz .LBB35_16
	s_branch .LBB35_19
.LBB35_15:
                                        ; implicit-def: $vgpr6_vgpr7
.LBB35_16:
	s_and_not1_b32 vcc_lo, exec_lo, s10
	s_cbranch_vccnz .LBB35_18
; %bb.17:
	v_mul_u64_e32 v[8:9], s[2:3], v[8:9]
.LBB35_18:
	s_delay_alu instid0(VALU_DEP_1)
	v_mov_b64_e32 v[6:7], v[8:9]
.LBB35_19:
	s_cmp_eq_u32 s15, 1
	s_cselect_b32 s10, -1, 0
	s_cmp_eq_u32 s13, 0x6f
	s_cselect_b32 s11, -1, 0
	s_cmp_lg_u32 s13, 0x6f
	s_cselect_b32 s12, -1, 0
	s_cmp_lg_u32 s15, 1
	s_cbranch_scc0 .LBB35_23
; %bb.20:
	v_mov_b64_e32 v[8:9], v[4:5]
	s_and_not1_b32 vcc_lo, exec_lo, s12
	s_cbranch_vccnz .LBB35_22
; %bb.21:
	v_mul_u64_e32 v[8:9], s[4:5], v[4:5]
.LBB35_22:
	s_cbranch_execz .LBB35_24
	s_branch .LBB35_27
.LBB35_23:
                                        ; implicit-def: $vgpr8_vgpr9
.LBB35_24:
	s_and_not1_b32 vcc_lo, exec_lo, s11
	s_cbranch_vccnz .LBB35_26
; %bb.25:
	v_mul_u64_e32 v[4:5], s[4:5], v[4:5]
.LBB35_26:
	s_delay_alu instid0(VALU_DEP_1)
	v_mov_b64_e32 v[8:9], v[4:5]
.LBB35_27:
	v_cmp_lt_i64_e64 s12, s[8:9], 1
	s_and_b32 vcc_lo, exec_lo, s12
	s_cbranch_vccnz .LBB35_30
; %bb.28:
	s_clause 0x1
	s_load_b64 s[12:13], s[0:1], 0x48
	s_load_b64 s[14:15], s[0:1], 0x38
	s_xor_b32 s6, s7, s6
	s_delay_alu instid0(SALU_CYCLE_1) | instskip(SKIP_3) | instid1(SALU_CYCLE_1)
	s_and_b32 s6, s6, exec_lo
	s_cselect_b32 s7, 0, s3
	s_cselect_b32 s6, 1, s2
	s_xor_b32 s2, s11, s10
	s_and_b32 s2, s2, exec_lo
	s_cselect_b32 s3, s5, 0
	s_cselect_b32 s2, s4, 1
	s_lshl_b64 s[4:5], s[6:7], 1
	s_lshl_b64 s[2:3], s[2:3], 1
	s_wait_kmcnt 0x0
	v_lshl_add_u64 v[4:5], v[8:9], 1, s[12:13]
	v_lshl_add_u64 v[6:7], v[6:7], 1, s[14:15]
	v_mov_b32_e32 v8, 0
.LBB35_29:                              ; =>This Inner Loop Header: Depth=1
	global_load_u16 v9, v[6:7], off
	global_load_u16 v11, v[4:5], off
	s_wait_xcnt 0x0
	v_add_nc_u64_e32 v[4:5], s[2:3], v[4:5]
	v_add_nc_u64_e32 v[6:7], s[4:5], v[6:7]
	s_add_nc_u64 s[8:9], s[8:9], -1
	s_delay_alu instid0(SALU_CYCLE_1)
	s_cmp_eq_u64 s[8:9], 0
	s_wait_loadcnt 0x0
	v_fmac_f16_e32 v8, v9, v11
	s_cbranch_scc0 .LBB35_29
	s_branch .LBB35_31
.LBB35_30:
	v_mov_b32_e32 v8, 0
.LBB35_31:
	s_load_b64 s[0:1], s[0:1], 0x60
	v_lshlrev_b32_e32 v0, 1, v0
	ds_store_b16 v0, v8
	s_wait_dscnt 0x0
	s_barrier_signal -1
	s_barrier_wait -1
	ds_load_u16 v0, v0
	s_wait_kmcnt 0x0
	v_lshl_add_u64 v[2:3], v[2:3], 1, s[0:1]
	global_load_u16 v4, v[2:3], off
	s_wait_dscnt 0x0
	v_mul_f16_e32 v0, v1, v0
	s_wait_loadcnt 0x0
	s_delay_alu instid0(VALU_DEP_1)
	v_fmac_f16_e32 v0, v10, v4
	global_store_b16 v[2:3], v0, off
.LBB35_32:
	s_endpgm
	.section	.rodata,"a",@progbits
	.p2align	6, 0x0
	.amdhsa_kernel _ZN9rocsparseL16sddmm_ell_kernelILi512ELi1EDF16_llDF16_DF16_DF16_EEv20rocsparse_operation_S1_16rocsparse_order_S2_T3_S3_S3_T2_NS_24const_host_device_scalarIT1_EEPKT4_lPKT5_lS7_PT6_PKS3_21rocsparse_index_base_b
		.amdhsa_group_segment_fixed_size 1024
		.amdhsa_private_segment_fixed_size 0
		.amdhsa_kernarg_size 120
		.amdhsa_user_sgpr_count 2
		.amdhsa_user_sgpr_dispatch_ptr 0
		.amdhsa_user_sgpr_queue_ptr 0
		.amdhsa_user_sgpr_kernarg_segment_ptr 1
		.amdhsa_user_sgpr_dispatch_id 0
		.amdhsa_user_sgpr_kernarg_preload_length 0
		.amdhsa_user_sgpr_kernarg_preload_offset 0
		.amdhsa_user_sgpr_private_segment_size 0
		.amdhsa_wavefront_size32 1
		.amdhsa_uses_dynamic_stack 0
		.amdhsa_enable_private_segment 0
		.amdhsa_system_sgpr_workgroup_id_x 1
		.amdhsa_system_sgpr_workgroup_id_y 0
		.amdhsa_system_sgpr_workgroup_id_z 0
		.amdhsa_system_sgpr_workgroup_info 0
		.amdhsa_system_vgpr_workitem_id 0
		.amdhsa_next_free_vgpr 16
		.amdhsa_next_free_sgpr 24
		.amdhsa_named_barrier_count 0
		.amdhsa_reserve_vcc 1
		.amdhsa_float_round_mode_32 0
		.amdhsa_float_round_mode_16_64 0
		.amdhsa_float_denorm_mode_32 3
		.amdhsa_float_denorm_mode_16_64 3
		.amdhsa_fp16_overflow 0
		.amdhsa_memory_ordered 1
		.amdhsa_forward_progress 1
		.amdhsa_inst_pref_size 12
		.amdhsa_round_robin_scheduling 0
		.amdhsa_exception_fp_ieee_invalid_op 0
		.amdhsa_exception_fp_denorm_src 0
		.amdhsa_exception_fp_ieee_div_zero 0
		.amdhsa_exception_fp_ieee_overflow 0
		.amdhsa_exception_fp_ieee_underflow 0
		.amdhsa_exception_fp_ieee_inexact 0
		.amdhsa_exception_int_div_zero 0
	.end_amdhsa_kernel
	.section	.text._ZN9rocsparseL16sddmm_ell_kernelILi512ELi1EDF16_llDF16_DF16_DF16_EEv20rocsparse_operation_S1_16rocsparse_order_S2_T3_S3_S3_T2_NS_24const_host_device_scalarIT1_EEPKT4_lPKT5_lS7_PT6_PKS3_21rocsparse_index_base_b,"axG",@progbits,_ZN9rocsparseL16sddmm_ell_kernelILi512ELi1EDF16_llDF16_DF16_DF16_EEv20rocsparse_operation_S1_16rocsparse_order_S2_T3_S3_S3_T2_NS_24const_host_device_scalarIT1_EEPKT4_lPKT5_lS7_PT6_PKS3_21rocsparse_index_base_b,comdat
.Lfunc_end35:
	.size	_ZN9rocsparseL16sddmm_ell_kernelILi512ELi1EDF16_llDF16_DF16_DF16_EEv20rocsparse_operation_S1_16rocsparse_order_S2_T3_S3_S3_T2_NS_24const_host_device_scalarIT1_EEPKT4_lPKT5_lS7_PT6_PKS3_21rocsparse_index_base_b, .Lfunc_end35-_ZN9rocsparseL16sddmm_ell_kernelILi512ELi1EDF16_llDF16_DF16_DF16_EEv20rocsparse_operation_S1_16rocsparse_order_S2_T3_S3_S3_T2_NS_24const_host_device_scalarIT1_EEPKT4_lPKT5_lS7_PT6_PKS3_21rocsparse_index_base_b
                                        ; -- End function
	.set _ZN9rocsparseL16sddmm_ell_kernelILi512ELi1EDF16_llDF16_DF16_DF16_EEv20rocsparse_operation_S1_16rocsparse_order_S2_T3_S3_S3_T2_NS_24const_host_device_scalarIT1_EEPKT4_lPKT5_lS7_PT6_PKS3_21rocsparse_index_base_b.num_vgpr, 16
	.set _ZN9rocsparseL16sddmm_ell_kernelILi512ELi1EDF16_llDF16_DF16_DF16_EEv20rocsparse_operation_S1_16rocsparse_order_S2_T3_S3_S3_T2_NS_24const_host_device_scalarIT1_EEPKT4_lPKT5_lS7_PT6_PKS3_21rocsparse_index_base_b.num_agpr, 0
	.set _ZN9rocsparseL16sddmm_ell_kernelILi512ELi1EDF16_llDF16_DF16_DF16_EEv20rocsparse_operation_S1_16rocsparse_order_S2_T3_S3_S3_T2_NS_24const_host_device_scalarIT1_EEPKT4_lPKT5_lS7_PT6_PKS3_21rocsparse_index_base_b.numbered_sgpr, 24
	.set _ZN9rocsparseL16sddmm_ell_kernelILi512ELi1EDF16_llDF16_DF16_DF16_EEv20rocsparse_operation_S1_16rocsparse_order_S2_T3_S3_S3_T2_NS_24const_host_device_scalarIT1_EEPKT4_lPKT5_lS7_PT6_PKS3_21rocsparse_index_base_b.num_named_barrier, 0
	.set _ZN9rocsparseL16sddmm_ell_kernelILi512ELi1EDF16_llDF16_DF16_DF16_EEv20rocsparse_operation_S1_16rocsparse_order_S2_T3_S3_S3_T2_NS_24const_host_device_scalarIT1_EEPKT4_lPKT5_lS7_PT6_PKS3_21rocsparse_index_base_b.private_seg_size, 0
	.set _ZN9rocsparseL16sddmm_ell_kernelILi512ELi1EDF16_llDF16_DF16_DF16_EEv20rocsparse_operation_S1_16rocsparse_order_S2_T3_S3_S3_T2_NS_24const_host_device_scalarIT1_EEPKT4_lPKT5_lS7_PT6_PKS3_21rocsparse_index_base_b.uses_vcc, 1
	.set _ZN9rocsparseL16sddmm_ell_kernelILi512ELi1EDF16_llDF16_DF16_DF16_EEv20rocsparse_operation_S1_16rocsparse_order_S2_T3_S3_S3_T2_NS_24const_host_device_scalarIT1_EEPKT4_lPKT5_lS7_PT6_PKS3_21rocsparse_index_base_b.uses_flat_scratch, 0
	.set _ZN9rocsparseL16sddmm_ell_kernelILi512ELi1EDF16_llDF16_DF16_DF16_EEv20rocsparse_operation_S1_16rocsparse_order_S2_T3_S3_S3_T2_NS_24const_host_device_scalarIT1_EEPKT4_lPKT5_lS7_PT6_PKS3_21rocsparse_index_base_b.has_dyn_sized_stack, 0
	.set _ZN9rocsparseL16sddmm_ell_kernelILi512ELi1EDF16_llDF16_DF16_DF16_EEv20rocsparse_operation_S1_16rocsparse_order_S2_T3_S3_S3_T2_NS_24const_host_device_scalarIT1_EEPKT4_lPKT5_lS7_PT6_PKS3_21rocsparse_index_base_b.has_recursion, 0
	.set _ZN9rocsparseL16sddmm_ell_kernelILi512ELi1EDF16_llDF16_DF16_DF16_EEv20rocsparse_operation_S1_16rocsparse_order_S2_T3_S3_S3_T2_NS_24const_host_device_scalarIT1_EEPKT4_lPKT5_lS7_PT6_PKS3_21rocsparse_index_base_b.has_indirect_call, 0
	.section	.AMDGPU.csdata,"",@progbits
; Kernel info:
; codeLenInByte = 1500
; TotalNumSgprs: 26
; NumVgprs: 16
; ScratchSize: 0
; MemoryBound: 0
; FloatMode: 240
; IeeeMode: 1
; LDSByteSize: 1024 bytes/workgroup (compile time only)
; SGPRBlocks: 0
; VGPRBlocks: 0
; NumSGPRsForWavesPerEU: 26
; NumVGPRsForWavesPerEU: 16
; NamedBarCnt: 0
; Occupancy: 16
; WaveLimiterHint : 0
; COMPUTE_PGM_RSRC2:SCRATCH_EN: 0
; COMPUTE_PGM_RSRC2:USER_SGPR: 2
; COMPUTE_PGM_RSRC2:TRAP_HANDLER: 0
; COMPUTE_PGM_RSRC2:TGID_X_EN: 1
; COMPUTE_PGM_RSRC2:TGID_Y_EN: 0
; COMPUTE_PGM_RSRC2:TGID_Z_EN: 0
; COMPUTE_PGM_RSRC2:TIDIG_COMP_CNT: 0
	.section	.text._ZN9rocsparseL23sddmm_ell_sample_kernelILi16ELi32EflfEEvT2_S1_PKT3_lS1_PS2_PKS1_21rocsparse_index_base_,"axG",@progbits,_ZN9rocsparseL23sddmm_ell_sample_kernelILi16ELi32EflfEEvT2_S1_PKT3_lS1_PS2_PKS1_21rocsparse_index_base_,comdat
	.globl	_ZN9rocsparseL23sddmm_ell_sample_kernelILi16ELi32EflfEEvT2_S1_PKT3_lS1_PS2_PKS1_21rocsparse_index_base_ ; -- Begin function _ZN9rocsparseL23sddmm_ell_sample_kernelILi16ELi32EflfEEvT2_S1_PKT3_lS1_PS2_PKS1_21rocsparse_index_base_
	.p2align	8
	.type	_ZN9rocsparseL23sddmm_ell_sample_kernelILi16ELi32EflfEEvT2_S1_PKT3_lS1_PS2_PKS1_21rocsparse_index_base_,@function
_ZN9rocsparseL23sddmm_ell_sample_kernelILi16ELi32EflfEEvT2_S1_PKT3_lS1_PS2_PKS1_21rocsparse_index_base_: ; @_ZN9rocsparseL23sddmm_ell_sample_kernelILi16ELi32EflfEEvT2_S1_PKT3_lS1_PS2_PKS1_21rocsparse_index_base_
; %bb.0:
	s_load_b128 s[8:11], s[0:1], 0x18
	s_bfe_u32 s2, ttmp6, 0x4000c
	s_and_b32 s3, ttmp6, 15
	s_add_co_i32 s2, s2, 1
	s_getreg_b32 s4, hwreg(HW_REG_IB_STS2, 6, 4)
	s_mul_i32 s2, ttmp9, s2
	v_dual_mov_b32 v1, 0 :: v_dual_lshrrev_b32 v2, 5, v0
	s_add_co_i32 s3, s3, s2
	s_cmp_eq_u32 s4, 0
	s_cselect_b32 s2, ttmp9, s3
	s_delay_alu instid0(VALU_DEP_1) | instskip(SKIP_3) | instid1(VALU_DEP_1)
	v_mov_b32_e32 v3, v1
	v_lshl_or_b32 v2, s2, 4, v2
	s_mov_b32 s2, exec_lo
	s_wait_kmcnt 0x0
	v_cmpx_gt_i64_e64 s[10:11], v[2:3]
	s_cbranch_execz .LBB36_6
; %bb.1:
	s_load_b128 s[4:7], s[0:1], 0x0
	v_and_b32_e32 v0, 31, v0
	s_wait_kmcnt 0x0
	s_delay_alu instid0(VALU_DEP_1)
	v_cmp_gt_i64_e32 vcc_lo, s[4:5], v[0:1]
	s_and_b32 exec_lo, exec_lo, vcc_lo
	s_cbranch_execz .LBB36_6
; %bb.2:
	v_mad_nc_u64_u32 v[6:7], s4, v2, v[0:1]
	s_clause 0x2
	s_load_b64 s[10:11], s[0:1], 0x10
	s_load_b128 s[12:15], s[0:1], 0x28
	s_load_b32 s2, s[0:1], 0x38
	s_mov_b32 s3, 0
	s_lshl_b64 s[8:9], s[8:9], 2
	s_wait_xcnt 0x0
	s_mov_b32 s1, s3
	v_mov_b32_e32 v3, 0
	s_delay_alu instid0(VALU_DEP_2) | instskip(SKIP_2) | instid1(VALU_DEP_1)
	v_mad_u32 v7, s5, v2, v7
	v_lshlrev_b32_e32 v2, 2, v0
	s_wait_kmcnt 0x0
	v_add_nc_u64_e32 v[2:3], s[10:11], v[2:3]
	s_delay_alu instid0(VALU_DEP_3)
	v_lshl_add_u64 v[4:5], v[6:7], 3, s[14:15]
	v_lshl_add_u64 v[6:7], v[6:7], 2, s[12:13]
	s_branch .LBB36_4
.LBB36_3:                               ;   in Loop: Header=BB36_4 Depth=1
	s_wait_xcnt 0x0
	s_or_b32 exec_lo, exec_lo, s0
	v_add_nc_u64_e32 v[0:1], 32, v[0:1]
	v_add_nc_u64_e32 v[4:5], 0x100, v[4:5]
	;; [unrolled: 1-line block ×4, first 2 shown]
	s_delay_alu instid0(VALU_DEP_4) | instskip(SKIP_1) | instid1(SALU_CYCLE_1)
	v_cmp_le_i64_e32 vcc_lo, s[4:5], v[0:1]
	s_or_b32 s1, vcc_lo, s1
	s_and_not1_b32 exec_lo, exec_lo, s1
	s_cbranch_execz .LBB36_6
.LBB36_4:                               ; =>This Inner Loop Header: Depth=1
	global_load_b64 v[8:9], v[4:5], off
	s_wait_loadcnt 0x0
	v_sub_nc_u64_e64 v[8:9], v[8:9], s[2:3]
	s_delay_alu instid0(VALU_DEP_1)
	v_cmp_lt_i64_e32 vcc_lo, -1, v[8:9]
	v_cmp_gt_i64_e64 s0, s[6:7], v[8:9]
	s_and_b32 s10, vcc_lo, s0
	s_wait_xcnt 0x0
	s_and_saveexec_b32 s0, s10
	s_cbranch_execz .LBB36_3
; %bb.5:                                ;   in Loop: Header=BB36_4 Depth=1
	v_mad_nc_u64_u32 v[10:11], s8, v8, v[2:3]
	s_delay_alu instid0(VALU_DEP_1) | instskip(NEXT) | instid1(VALU_DEP_1)
	v_mad_u32 v8, s9, v8, v11
	v_mad_u32 v11, s8, v9, v8
	global_load_b32 v8, v[10:11], off
	s_wait_loadcnt 0x0
	global_store_b32 v[6:7], v8, off
	s_branch .LBB36_3
.LBB36_6:
	s_endpgm
	.section	.rodata,"a",@progbits
	.p2align	6, 0x0
	.amdhsa_kernel _ZN9rocsparseL23sddmm_ell_sample_kernelILi16ELi32EflfEEvT2_S1_PKT3_lS1_PS2_PKS1_21rocsparse_index_base_
		.amdhsa_group_segment_fixed_size 0
		.amdhsa_private_segment_fixed_size 0
		.amdhsa_kernarg_size 60
		.amdhsa_user_sgpr_count 2
		.amdhsa_user_sgpr_dispatch_ptr 0
		.amdhsa_user_sgpr_queue_ptr 0
		.amdhsa_user_sgpr_kernarg_segment_ptr 1
		.amdhsa_user_sgpr_dispatch_id 0
		.amdhsa_user_sgpr_kernarg_preload_length 0
		.amdhsa_user_sgpr_kernarg_preload_offset 0
		.amdhsa_user_sgpr_private_segment_size 0
		.amdhsa_wavefront_size32 1
		.amdhsa_uses_dynamic_stack 0
		.amdhsa_enable_private_segment 0
		.amdhsa_system_sgpr_workgroup_id_x 1
		.amdhsa_system_sgpr_workgroup_id_y 0
		.amdhsa_system_sgpr_workgroup_id_z 0
		.amdhsa_system_sgpr_workgroup_info 0
		.amdhsa_system_vgpr_workitem_id 0
		.amdhsa_next_free_vgpr 12
		.amdhsa_next_free_sgpr 16
		.amdhsa_named_barrier_count 0
		.amdhsa_reserve_vcc 1
		.amdhsa_float_round_mode_32 0
		.amdhsa_float_round_mode_16_64 0
		.amdhsa_float_denorm_mode_32 3
		.amdhsa_float_denorm_mode_16_64 3
		.amdhsa_fp16_overflow 0
		.amdhsa_memory_ordered 1
		.amdhsa_forward_progress 1
		.amdhsa_inst_pref_size 4
		.amdhsa_round_robin_scheduling 0
		.amdhsa_exception_fp_ieee_invalid_op 0
		.amdhsa_exception_fp_denorm_src 0
		.amdhsa_exception_fp_ieee_div_zero 0
		.amdhsa_exception_fp_ieee_overflow 0
		.amdhsa_exception_fp_ieee_underflow 0
		.amdhsa_exception_fp_ieee_inexact 0
		.amdhsa_exception_int_div_zero 0
	.end_amdhsa_kernel
	.section	.text._ZN9rocsparseL23sddmm_ell_sample_kernelILi16ELi32EflfEEvT2_S1_PKT3_lS1_PS2_PKS1_21rocsparse_index_base_,"axG",@progbits,_ZN9rocsparseL23sddmm_ell_sample_kernelILi16ELi32EflfEEvT2_S1_PKT3_lS1_PS2_PKS1_21rocsparse_index_base_,comdat
.Lfunc_end36:
	.size	_ZN9rocsparseL23sddmm_ell_sample_kernelILi16ELi32EflfEEvT2_S1_PKT3_lS1_PS2_PKS1_21rocsparse_index_base_, .Lfunc_end36-_ZN9rocsparseL23sddmm_ell_sample_kernelILi16ELi32EflfEEvT2_S1_PKT3_lS1_PS2_PKS1_21rocsparse_index_base_
                                        ; -- End function
	.set _ZN9rocsparseL23sddmm_ell_sample_kernelILi16ELi32EflfEEvT2_S1_PKT3_lS1_PS2_PKS1_21rocsparse_index_base_.num_vgpr, 12
	.set _ZN9rocsparseL23sddmm_ell_sample_kernelILi16ELi32EflfEEvT2_S1_PKT3_lS1_PS2_PKS1_21rocsparse_index_base_.num_agpr, 0
	.set _ZN9rocsparseL23sddmm_ell_sample_kernelILi16ELi32EflfEEvT2_S1_PKT3_lS1_PS2_PKS1_21rocsparse_index_base_.numbered_sgpr, 16
	.set _ZN9rocsparseL23sddmm_ell_sample_kernelILi16ELi32EflfEEvT2_S1_PKT3_lS1_PS2_PKS1_21rocsparse_index_base_.num_named_barrier, 0
	.set _ZN9rocsparseL23sddmm_ell_sample_kernelILi16ELi32EflfEEvT2_S1_PKT3_lS1_PS2_PKS1_21rocsparse_index_base_.private_seg_size, 0
	.set _ZN9rocsparseL23sddmm_ell_sample_kernelILi16ELi32EflfEEvT2_S1_PKT3_lS1_PS2_PKS1_21rocsparse_index_base_.uses_vcc, 1
	.set _ZN9rocsparseL23sddmm_ell_sample_kernelILi16ELi32EflfEEvT2_S1_PKT3_lS1_PS2_PKS1_21rocsparse_index_base_.uses_flat_scratch, 0
	.set _ZN9rocsparseL23sddmm_ell_sample_kernelILi16ELi32EflfEEvT2_S1_PKT3_lS1_PS2_PKS1_21rocsparse_index_base_.has_dyn_sized_stack, 0
	.set _ZN9rocsparseL23sddmm_ell_sample_kernelILi16ELi32EflfEEvT2_S1_PKT3_lS1_PS2_PKS1_21rocsparse_index_base_.has_recursion, 0
	.set _ZN9rocsparseL23sddmm_ell_sample_kernelILi16ELi32EflfEEvT2_S1_PKT3_lS1_PS2_PKS1_21rocsparse_index_base_.has_indirect_call, 0
	.section	.AMDGPU.csdata,"",@progbits
; Kernel info:
; codeLenInByte = 400
; TotalNumSgprs: 18
; NumVgprs: 12
; ScratchSize: 0
; MemoryBound: 0
; FloatMode: 240
; IeeeMode: 1
; LDSByteSize: 0 bytes/workgroup (compile time only)
; SGPRBlocks: 0
; VGPRBlocks: 0
; NumSGPRsForWavesPerEU: 18
; NumVGPRsForWavesPerEU: 12
; NamedBarCnt: 0
; Occupancy: 16
; WaveLimiterHint : 1
; COMPUTE_PGM_RSRC2:SCRATCH_EN: 0
; COMPUTE_PGM_RSRC2:USER_SGPR: 2
; COMPUTE_PGM_RSRC2:TRAP_HANDLER: 0
; COMPUTE_PGM_RSRC2:TGID_X_EN: 1
; COMPUTE_PGM_RSRC2:TGID_Y_EN: 0
; COMPUTE_PGM_RSRC2:TGID_Z_EN: 0
; COMPUTE_PGM_RSRC2:TIDIG_COMP_CNT: 0
	.section	.text._ZN9rocsparseL23sddmm_ell_sample_kernelILi16ELi64EflfEEvT2_S1_PKT3_lS1_PS2_PKS1_21rocsparse_index_base_,"axG",@progbits,_ZN9rocsparseL23sddmm_ell_sample_kernelILi16ELi64EflfEEvT2_S1_PKT3_lS1_PS2_PKS1_21rocsparse_index_base_,comdat
	.globl	_ZN9rocsparseL23sddmm_ell_sample_kernelILi16ELi64EflfEEvT2_S1_PKT3_lS1_PS2_PKS1_21rocsparse_index_base_ ; -- Begin function _ZN9rocsparseL23sddmm_ell_sample_kernelILi16ELi64EflfEEvT2_S1_PKT3_lS1_PS2_PKS1_21rocsparse_index_base_
	.p2align	8
	.type	_ZN9rocsparseL23sddmm_ell_sample_kernelILi16ELi64EflfEEvT2_S1_PKT3_lS1_PS2_PKS1_21rocsparse_index_base_,@function
_ZN9rocsparseL23sddmm_ell_sample_kernelILi16ELi64EflfEEvT2_S1_PKT3_lS1_PS2_PKS1_21rocsparse_index_base_: ; @_ZN9rocsparseL23sddmm_ell_sample_kernelILi16ELi64EflfEEvT2_S1_PKT3_lS1_PS2_PKS1_21rocsparse_index_base_
; %bb.0:
	s_load_b128 s[8:11], s[0:1], 0x18
	s_bfe_u32 s2, ttmp6, 0x4000c
	s_and_b32 s3, ttmp6, 15
	s_add_co_i32 s2, s2, 1
	s_getreg_b32 s4, hwreg(HW_REG_IB_STS2, 6, 4)
	s_mul_i32 s2, ttmp9, s2
	v_dual_mov_b32 v1, 0 :: v_dual_lshrrev_b32 v2, 6, v0
	s_add_co_i32 s3, s3, s2
	s_cmp_eq_u32 s4, 0
	s_cselect_b32 s2, ttmp9, s3
	s_delay_alu instid0(VALU_DEP_1) | instskip(SKIP_3) | instid1(VALU_DEP_1)
	v_mov_b32_e32 v3, v1
	v_lshl_or_b32 v2, s2, 4, v2
	s_mov_b32 s2, exec_lo
	s_wait_kmcnt 0x0
	v_cmpx_gt_i64_e64 s[10:11], v[2:3]
	s_cbranch_execz .LBB37_6
; %bb.1:
	s_load_b128 s[4:7], s[0:1], 0x0
	v_and_b32_e32 v0, 63, v0
	s_wait_kmcnt 0x0
	s_delay_alu instid0(VALU_DEP_1)
	v_cmp_gt_i64_e32 vcc_lo, s[4:5], v[0:1]
	s_and_b32 exec_lo, exec_lo, vcc_lo
	s_cbranch_execz .LBB37_6
; %bb.2:
	v_mad_nc_u64_u32 v[6:7], s4, v2, v[0:1]
	s_clause 0x2
	s_load_b64 s[10:11], s[0:1], 0x10
	s_load_b128 s[12:15], s[0:1], 0x28
	s_load_b32 s2, s[0:1], 0x38
	s_mov_b32 s3, 0
	s_lshl_b64 s[8:9], s[8:9], 2
	s_wait_xcnt 0x0
	s_mov_b32 s1, s3
	v_mov_b32_e32 v3, 0
	s_delay_alu instid0(VALU_DEP_2) | instskip(SKIP_2) | instid1(VALU_DEP_1)
	v_mad_u32 v7, s5, v2, v7
	v_lshlrev_b32_e32 v2, 2, v0
	s_wait_kmcnt 0x0
	v_add_nc_u64_e32 v[2:3], s[10:11], v[2:3]
	s_delay_alu instid0(VALU_DEP_3)
	v_lshl_add_u64 v[4:5], v[6:7], 3, s[14:15]
	v_lshl_add_u64 v[6:7], v[6:7], 2, s[12:13]
	s_branch .LBB37_4
.LBB37_3:                               ;   in Loop: Header=BB37_4 Depth=1
	s_wait_xcnt 0x0
	s_or_b32 exec_lo, exec_lo, s0
	v_add_nc_u64_e32 v[0:1], 64, v[0:1]
	v_add_nc_u64_e32 v[4:5], 0x200, v[4:5]
	v_add_nc_u64_e32 v[6:7], 0x100, v[6:7]
	v_add_nc_u64_e32 v[2:3], 0x100, v[2:3]
	s_delay_alu instid0(VALU_DEP_4) | instskip(SKIP_1) | instid1(SALU_CYCLE_1)
	v_cmp_le_i64_e32 vcc_lo, s[4:5], v[0:1]
	s_or_b32 s1, vcc_lo, s1
	s_and_not1_b32 exec_lo, exec_lo, s1
	s_cbranch_execz .LBB37_6
.LBB37_4:                               ; =>This Inner Loop Header: Depth=1
	global_load_b64 v[8:9], v[4:5], off
	s_wait_loadcnt 0x0
	v_sub_nc_u64_e64 v[8:9], v[8:9], s[2:3]
	s_delay_alu instid0(VALU_DEP_1)
	v_cmp_lt_i64_e32 vcc_lo, -1, v[8:9]
	v_cmp_gt_i64_e64 s0, s[6:7], v[8:9]
	s_and_b32 s10, vcc_lo, s0
	s_wait_xcnt 0x0
	s_and_saveexec_b32 s0, s10
	s_cbranch_execz .LBB37_3
; %bb.5:                                ;   in Loop: Header=BB37_4 Depth=1
	v_mad_nc_u64_u32 v[10:11], s8, v8, v[2:3]
	s_delay_alu instid0(VALU_DEP_1) | instskip(NEXT) | instid1(VALU_DEP_1)
	v_mad_u32 v8, s9, v8, v11
	v_mad_u32 v11, s8, v9, v8
	global_load_b32 v8, v[10:11], off
	s_wait_loadcnt 0x0
	global_store_b32 v[6:7], v8, off
	s_branch .LBB37_3
.LBB37_6:
	s_endpgm
	.section	.rodata,"a",@progbits
	.p2align	6, 0x0
	.amdhsa_kernel _ZN9rocsparseL23sddmm_ell_sample_kernelILi16ELi64EflfEEvT2_S1_PKT3_lS1_PS2_PKS1_21rocsparse_index_base_
		.amdhsa_group_segment_fixed_size 0
		.amdhsa_private_segment_fixed_size 0
		.amdhsa_kernarg_size 60
		.amdhsa_user_sgpr_count 2
		.amdhsa_user_sgpr_dispatch_ptr 0
		.amdhsa_user_sgpr_queue_ptr 0
		.amdhsa_user_sgpr_kernarg_segment_ptr 1
		.amdhsa_user_sgpr_dispatch_id 0
		.amdhsa_user_sgpr_kernarg_preload_length 0
		.amdhsa_user_sgpr_kernarg_preload_offset 0
		.amdhsa_user_sgpr_private_segment_size 0
		.amdhsa_wavefront_size32 1
		.amdhsa_uses_dynamic_stack 0
		.amdhsa_enable_private_segment 0
		.amdhsa_system_sgpr_workgroup_id_x 1
		.amdhsa_system_sgpr_workgroup_id_y 0
		.amdhsa_system_sgpr_workgroup_id_z 0
		.amdhsa_system_sgpr_workgroup_info 0
		.amdhsa_system_vgpr_workitem_id 0
		.amdhsa_next_free_vgpr 12
		.amdhsa_next_free_sgpr 16
		.amdhsa_named_barrier_count 0
		.amdhsa_reserve_vcc 1
		.amdhsa_float_round_mode_32 0
		.amdhsa_float_round_mode_16_64 0
		.amdhsa_float_denorm_mode_32 3
		.amdhsa_float_denorm_mode_16_64 3
		.amdhsa_fp16_overflow 0
		.amdhsa_memory_ordered 1
		.amdhsa_forward_progress 1
		.amdhsa_inst_pref_size 4
		.amdhsa_round_robin_scheduling 0
		.amdhsa_exception_fp_ieee_invalid_op 0
		.amdhsa_exception_fp_denorm_src 0
		.amdhsa_exception_fp_ieee_div_zero 0
		.amdhsa_exception_fp_ieee_overflow 0
		.amdhsa_exception_fp_ieee_underflow 0
		.amdhsa_exception_fp_ieee_inexact 0
		.amdhsa_exception_int_div_zero 0
	.end_amdhsa_kernel
	.section	.text._ZN9rocsparseL23sddmm_ell_sample_kernelILi16ELi64EflfEEvT2_S1_PKT3_lS1_PS2_PKS1_21rocsparse_index_base_,"axG",@progbits,_ZN9rocsparseL23sddmm_ell_sample_kernelILi16ELi64EflfEEvT2_S1_PKT3_lS1_PS2_PKS1_21rocsparse_index_base_,comdat
.Lfunc_end37:
	.size	_ZN9rocsparseL23sddmm_ell_sample_kernelILi16ELi64EflfEEvT2_S1_PKT3_lS1_PS2_PKS1_21rocsparse_index_base_, .Lfunc_end37-_ZN9rocsparseL23sddmm_ell_sample_kernelILi16ELi64EflfEEvT2_S1_PKT3_lS1_PS2_PKS1_21rocsparse_index_base_
                                        ; -- End function
	.set _ZN9rocsparseL23sddmm_ell_sample_kernelILi16ELi64EflfEEvT2_S1_PKT3_lS1_PS2_PKS1_21rocsparse_index_base_.num_vgpr, 12
	.set _ZN9rocsparseL23sddmm_ell_sample_kernelILi16ELi64EflfEEvT2_S1_PKT3_lS1_PS2_PKS1_21rocsparse_index_base_.num_agpr, 0
	.set _ZN9rocsparseL23sddmm_ell_sample_kernelILi16ELi64EflfEEvT2_S1_PKT3_lS1_PS2_PKS1_21rocsparse_index_base_.numbered_sgpr, 16
	.set _ZN9rocsparseL23sddmm_ell_sample_kernelILi16ELi64EflfEEvT2_S1_PKT3_lS1_PS2_PKS1_21rocsparse_index_base_.num_named_barrier, 0
	.set _ZN9rocsparseL23sddmm_ell_sample_kernelILi16ELi64EflfEEvT2_S1_PKT3_lS1_PS2_PKS1_21rocsparse_index_base_.private_seg_size, 0
	.set _ZN9rocsparseL23sddmm_ell_sample_kernelILi16ELi64EflfEEvT2_S1_PKT3_lS1_PS2_PKS1_21rocsparse_index_base_.uses_vcc, 1
	.set _ZN9rocsparseL23sddmm_ell_sample_kernelILi16ELi64EflfEEvT2_S1_PKT3_lS1_PS2_PKS1_21rocsparse_index_base_.uses_flat_scratch, 0
	.set _ZN9rocsparseL23sddmm_ell_sample_kernelILi16ELi64EflfEEvT2_S1_PKT3_lS1_PS2_PKS1_21rocsparse_index_base_.has_dyn_sized_stack, 0
	.set _ZN9rocsparseL23sddmm_ell_sample_kernelILi16ELi64EflfEEvT2_S1_PKT3_lS1_PS2_PKS1_21rocsparse_index_base_.has_recursion, 0
	.set _ZN9rocsparseL23sddmm_ell_sample_kernelILi16ELi64EflfEEvT2_S1_PKT3_lS1_PS2_PKS1_21rocsparse_index_base_.has_indirect_call, 0
	.section	.AMDGPU.csdata,"",@progbits
; Kernel info:
; codeLenInByte = 400
; TotalNumSgprs: 18
; NumVgprs: 12
; ScratchSize: 0
; MemoryBound: 0
; FloatMode: 240
; IeeeMode: 1
; LDSByteSize: 0 bytes/workgroup (compile time only)
; SGPRBlocks: 0
; VGPRBlocks: 0
; NumSGPRsForWavesPerEU: 18
; NumVGPRsForWavesPerEU: 12
; NamedBarCnt: 0
; Occupancy: 16
; WaveLimiterHint : 1
; COMPUTE_PGM_RSRC2:SCRATCH_EN: 0
; COMPUTE_PGM_RSRC2:USER_SGPR: 2
; COMPUTE_PGM_RSRC2:TRAP_HANDLER: 0
; COMPUTE_PGM_RSRC2:TGID_X_EN: 1
; COMPUTE_PGM_RSRC2:TGID_Y_EN: 0
; COMPUTE_PGM_RSRC2:TGID_Z_EN: 0
; COMPUTE_PGM_RSRC2:TIDIG_COMP_CNT: 0
	.section	.text._ZN9rocsparseL16sddmm_ell_kernelILi512ELi8EfllfffEEv20rocsparse_operation_S1_16rocsparse_order_S2_T3_S3_S3_T2_NS_24const_host_device_scalarIT1_EEPKT4_lPKT5_lS7_PT6_PKS3_21rocsparse_index_base_b,"axG",@progbits,_ZN9rocsparseL16sddmm_ell_kernelILi512ELi8EfllfffEEv20rocsparse_operation_S1_16rocsparse_order_S2_T3_S3_S3_T2_NS_24const_host_device_scalarIT1_EEPKT4_lPKT5_lS7_PT6_PKS3_21rocsparse_index_base_b,comdat
	.globl	_ZN9rocsparseL16sddmm_ell_kernelILi512ELi8EfllfffEEv20rocsparse_operation_S1_16rocsparse_order_S2_T3_S3_S3_T2_NS_24const_host_device_scalarIT1_EEPKT4_lPKT5_lS7_PT6_PKS3_21rocsparse_index_base_b ; -- Begin function _ZN9rocsparseL16sddmm_ell_kernelILi512ELi8EfllfffEEv20rocsparse_operation_S1_16rocsparse_order_S2_T3_S3_S3_T2_NS_24const_host_device_scalarIT1_EEPKT4_lPKT5_lS7_PT6_PKS3_21rocsparse_index_base_b
	.p2align	8
	.type	_ZN9rocsparseL16sddmm_ell_kernelILi512ELi8EfllfffEEv20rocsparse_operation_S1_16rocsparse_order_S2_T3_S3_S3_T2_NS_24const_host_device_scalarIT1_EEPKT4_lPKT5_lS7_PT6_PKS3_21rocsparse_index_base_b,@function
_ZN9rocsparseL16sddmm_ell_kernelILi512ELi8EfllfffEEv20rocsparse_operation_S1_16rocsparse_order_S2_T3_S3_S3_T2_NS_24const_host_device_scalarIT1_EEPKT4_lPKT5_lS7_PT6_PKS3_21rocsparse_index_base_b: ; @_ZN9rocsparseL16sddmm_ell_kernelILi512ELi8EfllfffEEv20rocsparse_operation_S1_16rocsparse_order_S2_T3_S3_S3_T2_NS_24const_host_device_scalarIT1_EEPKT4_lPKT5_lS7_PT6_PKS3_21rocsparse_index_base_b
; %bb.0:
	s_clause 0x2
	s_load_b64 s[12:13], s[0:1], 0x70
	s_load_b64 s[16:17], s[0:1], 0x30
	s_load_b128 s[4:7], s[0:1], 0x50
	s_wait_kmcnt 0x0
	s_bitcmp1_b32 s13, 0
	s_cselect_b32 s2, -1, 0
	s_delay_alu instid0(SALU_CYCLE_1)
	s_and_b32 vcc_lo, exec_lo, s2
	s_xor_b32 s2, s2, -1
	s_cbranch_vccnz .LBB38_2
; %bb.1:
	s_load_b32 s16, s[16:17], 0x0
.LBB38_2:
	s_and_not1_b32 vcc_lo, exec_lo, s2
	s_cbranch_vccnz .LBB38_4
; %bb.3:
	s_load_b32 s6, s[6:7], 0x0
.LBB38_4:
	s_wait_kmcnt 0x0
	s_cmp_eq_f32 s16, 0
	s_cselect_b32 s2, -1, 0
	s_cmp_eq_f32 s6, 1.0
	s_cselect_b32 s3, -1, 0
	s_delay_alu instid0(SALU_CYCLE_1) | instskip(NEXT) | instid1(SALU_CYCLE_1)
	s_and_b32 s2, s2, s3
	s_and_b32 vcc_lo, exec_lo, s2
	s_cbranch_vccnz .LBB38_39
; %bb.5:
	s_load_b128 s[8:11], s[0:1], 0x20
	s_bfe_u32 s2, ttmp6, 0x4000c
	s_and_b32 s3, ttmp6, 15
	s_add_co_i32 s2, s2, 1
	s_getreg_b32 s7, hwreg(HW_REG_IB_STS2, 6, 4)
	s_mul_i32 s2, ttmp9, s2
	v_dual_mov_b32 v3, 0 :: v_dual_lshrrev_b32 v10, 3, v0
	s_add_co_i32 s3, s3, s2
	s_cmp_eq_u32 s7, 0
	s_cselect_b32 s2, ttmp9, s3
	s_delay_alu instid0(VALU_DEP_1) | instid1(SALU_CYCLE_1)
	v_lshl_or_b32 v2, s2, 6, v10
	s_mov_b32 s2, exec_lo
	s_wait_kmcnt 0x0
	s_delay_alu instid0(VALU_DEP_1)
	v_cmpx_gt_i64_e64 s[10:11], v[2:3]
	s_cbranch_execz .LBB38_39
; %bb.6:
	s_load_b64 s[10:11], s[0:1], 0x10
                                        ; implicit-def: $vgpr8_vgpr9
	s_wait_kmcnt 0x0
	s_and_b64 s[2:3], s[10:11], 0xffffffff00000000
	s_delay_alu instid0(SALU_CYCLE_1) | instskip(SKIP_1) | instid1(SALU_CYCLE_1)
	s_cmp_lg_u64 s[2:3], 0
	s_cselect_b32 s2, -1, 0
	s_and_saveexec_b32 s3, s2
	s_delay_alu instid0(SALU_CYCLE_1)
	s_xor_b32 s3, exec_lo, s3
	s_cbranch_execz .LBB38_8
; %bb.7:
	s_ashr_i32 s14, s11, 31
	s_mov_b32 s25, 0
	s_mov_b32 s15, s14
	v_add_nc_u64_e32 v[4:5], 0, v[2:3]
	s_add_nc_u64 s[18:19], s[10:11], s[14:15]
	v_mov_b32_e32 v7, 0
	s_xor_b64 s[14:15], s[18:19], s[14:15]
	s_delay_alu instid0(SALU_CYCLE_1) | instskip(SKIP_3) | instid1(SALU_CYCLE_1)
	s_cvt_f32_u32 s2, s14
	s_cvt_f32_u32 s7, s15
	s_sub_nc_u64 s[20:21], 0, s[14:15]
	v_mov_b32_e32 v6, v4
	s_fmamk_f32 s2, s7, 0x4f800000, s2
	s_delay_alu instid0(SALU_CYCLE_3) | instskip(NEXT) | instid1(TRANS32_DEP_1)
	v_s_rcp_f32 s2, s2
	s_mul_f32 s2, s2, 0x5f7ffffc
	s_delay_alu instid0(SALU_CYCLE_3) | instskip(NEXT) | instid1(SALU_CYCLE_3)
	s_mul_f32 s7, s2, 0x2f800000
	s_trunc_f32 s7, s7
	s_delay_alu instid0(SALU_CYCLE_3) | instskip(SKIP_1) | instid1(SALU_CYCLE_2)
	s_fmamk_f32 s2, s7, 0xcf800000, s2
	s_cvt_u32_f32 s19, s7
	s_cvt_u32_f32 s18, s2
	s_delay_alu instid0(SALU_CYCLE_3) | instskip(NEXT) | instid1(SALU_CYCLE_1)
	s_mul_u64 s[22:23], s[20:21], s[18:19]
	s_mul_hi_u32 s27, s18, s23
	s_mul_i32 s26, s18, s23
	s_mul_hi_u32 s24, s18, s22
	s_mul_i32 s7, s19, s22
	s_add_nc_u64 s[26:27], s[24:25], s[26:27]
	s_mul_hi_u32 s2, s19, s22
	s_mul_hi_u32 s11, s19, s23
	s_add_co_u32 s7, s26, s7
	s_add_co_ci_u32 s24, s27, s2
	s_mul_i32 s22, s19, s23
	s_add_co_ci_u32 s23, s11, 0
	s_delay_alu instid0(SALU_CYCLE_1) | instskip(NEXT) | instid1(SALU_CYCLE_1)
	s_add_nc_u64 s[22:23], s[24:25], s[22:23]
	s_add_co_u32 s18, s18, s22
	s_cselect_b32 s2, -1, 0
	s_delay_alu instid0(SALU_CYCLE_1) | instskip(SKIP_1) | instid1(SALU_CYCLE_1)
	s_cmp_lg_u32 s2, 0
	s_add_co_ci_u32 s19, s19, s23
	s_mul_u64 s[20:21], s[20:21], s[18:19]
	s_delay_alu instid0(SALU_CYCLE_1)
	s_mul_hi_u32 s23, s18, s21
	s_mul_i32 s22, s18, s21
	s_mul_hi_u32 s24, s18, s20
	s_mul_i32 s7, s19, s20
	s_add_nc_u64 s[22:23], s[24:25], s[22:23]
	s_mul_hi_u32 s2, s19, s20
	s_mul_hi_u32 s11, s19, s21
	s_add_co_u32 s7, s22, s7
	s_add_co_ci_u32 s24, s23, s2
	s_mul_i32 s20, s19, s21
	s_add_co_ci_u32 s21, s11, 0
	s_delay_alu instid0(SALU_CYCLE_1) | instskip(NEXT) | instid1(SALU_CYCLE_1)
	s_add_nc_u64 s[20:21], s[24:25], s[20:21]
	s_add_co_u32 s2, s18, s20
	s_cselect_b32 s7, -1, 0
	s_delay_alu instid0(SALU_CYCLE_1)
	s_cmp_lg_u32 s7, 0
	s_add_co_ci_u32 s24, s19, s21
	s_mov_b64 s[18:19], 0xffffffff
	v_mul_u64_e32 v[8:9], s[24:25], v[6:7]
	v_mul_hi_u32 v6, v4, s2
	s_and_b64 s[18:19], s[2:3], s[18:19]
	s_delay_alu instid0(VALU_DEP_1) | instskip(SKIP_1) | instid1(VALU_DEP_1)
	v_add_nc_u64_e32 v[8:9], v[6:7], v[8:9]
	v_mov_b32_e32 v6, v5
	v_mul_u64_e32 v[12:13], s[18:19], v[6:7]
	v_mul_u64_e32 v[14:15], s[24:25], v[6:7]
	s_delay_alu instid0(VALU_DEP_2) | instskip(NEXT) | instid1(VALU_DEP_3)
	v_add_co_u32 v1, vcc_lo, v8, v12
	v_add_co_ci_u32_e32 v6, vcc_lo, v9, v13, vcc_lo
	s_delay_alu instid0(VALU_DEP_3) | instskip(NEXT) | instid1(VALU_DEP_1)
	v_add_co_ci_u32_e32 v15, vcc_lo, 0, v15, vcc_lo
	v_add_nc_u64_e32 v[6:7], v[6:7], v[14:15]
	s_delay_alu instid0(VALU_DEP_1) | instskip(NEXT) | instid1(VALU_DEP_1)
	v_mul_u64_e32 v[6:7], s[14:15], v[6:7]
	v_sub_nc_u32_e32 v1, v5, v7
	s_delay_alu instid0(VALU_DEP_2) | instskip(NEXT) | instid1(VALU_DEP_1)
	v_sub_co_u32 v4, vcc_lo, v4, v6
	v_sub_co_ci_u32_e64 v5, null, v5, v7, vcc_lo
	s_delay_alu instid0(VALU_DEP_3) | instskip(NEXT) | instid1(VALU_DEP_3)
	v_subrev_co_ci_u32_e64 v1, null, s15, v1, vcc_lo
	v_sub_co_u32 v6, vcc_lo, v4, s14
	v_cmp_le_u32_e64 s2, s14, v4
	s_delay_alu instid0(VALU_DEP_3) | instskip(SKIP_1) | instid1(VALU_DEP_3)
	v_subrev_co_ci_u32_e64 v7, null, 0, v1, vcc_lo
	v_subrev_co_ci_u32_e64 v1, null, s15, v1, vcc_lo
	v_cndmask_b32_e64 v8, 0, -1, s2
	v_cmp_le_u32_e64 s2, s14, v6
	v_cmp_le_u32_e32 vcc_lo, s15, v5
	s_delay_alu instid0(VALU_DEP_2) | instskip(SKIP_3) | instid1(VALU_DEP_3)
	v_cndmask_b32_e64 v9, 0, -1, s2
	v_cmp_le_u32_e64 s2, s15, v7
	v_cndmask_b32_e64 v12, 0, -1, vcc_lo
	v_cmp_eq_u32_e32 vcc_lo, s15, v7
	v_cndmask_b32_e64 v11, 0, -1, s2
	v_cmp_eq_u32_e64 s2, s15, v5
	s_delay_alu instid0(VALU_DEP_1) | instskip(SKIP_1) | instid1(VALU_DEP_1)
	v_dual_cndmask_b32 v9, v11, v9, vcc_lo :: v_dual_cndmask_b32 v8, v12, v8, s2
	v_sub_co_u32 v11, vcc_lo, v6, s14
	v_subrev_co_ci_u32_e64 v1, null, 0, v1, vcc_lo
	s_delay_alu instid0(VALU_DEP_3) | instskip(NEXT) | instid1(VALU_DEP_2)
	v_cmp_ne_u32_e32 vcc_lo, 0, v9
	v_dual_cndmask_b32 v1, v7, v1 :: v_dual_cndmask_b32 v6, v6, v11
	v_cmp_ne_u32_e32 vcc_lo, 0, v8
	s_delay_alu instid0(VALU_DEP_2) | instskip(NEXT) | instid1(VALU_DEP_1)
	v_dual_cndmask_b32 v5, v5, v1 :: v_dual_cndmask_b32 v4, v4, v6
	v_sub_nc_u64_e64 v[8:9], v[4:5], 0
.LBB38_8:
	s_or_saveexec_b32 s7, s3
	s_load_b64 s[2:3], s[0:1], 0x68
	s_xor_b32 exec_lo, exec_lo, s7
	s_cbranch_execz .LBB38_10
; %bb.9:
	v_cvt_f32_u32_e32 v1, s10
	s_sub_co_i32 s11, 0, s10
	v_mov_b32_e32 v9, 0
	s_delay_alu instid0(VALU_DEP_2) | instskip(SKIP_1) | instid1(TRANS32_DEP_1)
	v_rcp_iflag_f32_e32 v1, v1
	v_nop
	v_mul_f32_e32 v1, 0x4f7ffffe, v1
	s_delay_alu instid0(VALU_DEP_1) | instskip(NEXT) | instid1(VALU_DEP_1)
	v_cvt_u32_f32_e32 v1, v1
	v_mul_lo_u32 v4, s11, v1
	s_delay_alu instid0(VALU_DEP_1) | instskip(NEXT) | instid1(VALU_DEP_1)
	v_mul_hi_u32 v4, v1, v4
	v_add_nc_u32_e32 v1, v1, v4
	s_delay_alu instid0(VALU_DEP_1) | instskip(NEXT) | instid1(VALU_DEP_1)
	v_mul_hi_u32 v1, v2, v1
	v_mul_lo_u32 v1, v1, s10
	s_delay_alu instid0(VALU_DEP_1) | instskip(NEXT) | instid1(VALU_DEP_1)
	v_sub_nc_u32_e32 v1, v2, v1
	v_subrev_nc_u32_e32 v4, s10, v1
	v_cmp_le_u32_e32 vcc_lo, s10, v1
	s_delay_alu instid0(VALU_DEP_2) | instskip(NEXT) | instid1(VALU_DEP_1)
	v_cndmask_b32_e32 v1, v1, v4, vcc_lo
	v_subrev_nc_u32_e32 v4, s10, v1
	v_cmp_le_u32_e32 vcc_lo, s10, v1
	s_delay_alu instid0(VALU_DEP_2)
	v_cndmask_b32_e32 v8, v1, v4, vcc_lo
.LBB38_10:
	s_or_b32 exec_lo, exec_lo, s7
	s_wait_kmcnt 0x0
	v_lshl_add_u64 v[4:5], v[2:3], 3, s[2:3]
	s_mov_b32 s13, 0
	global_load_b64 v[4:5], v[4:5], off
	s_wait_loadcnt 0x0
	v_sub_nc_u64_e64 v[6:7], v[4:5], s[12:13]
	s_delay_alu instid0(VALU_DEP_1)
	v_cmp_lt_i64_e32 vcc_lo, -1, v[6:7]
	s_and_b32 exec_lo, exec_lo, vcc_lo
	s_cbranch_execz .LBB38_39
; %bb.11:
	s_clause 0x1
	s_load_b128 s[12:15], s[0:1], 0x0
	s_load_b64 s[2:3], s[0:1], 0x40
	s_wait_kmcnt 0x0
	s_cmp_eq_u32 s14, 1
	s_cselect_b32 s7, -1, 0
	s_cmp_eq_u32 s12, 0x6f
	s_cselect_b32 s10, -1, 0
	s_cmp_lg_u32 s12, 0x6f
	s_cselect_b32 s11, -1, 0
	s_cmp_lg_u32 s14, 1
	s_cbranch_scc0 .LBB38_15
; %bb.12:
	v_mov_b64_e32 v[4:5], v[8:9]
	s_and_not1_b32 vcc_lo, exec_lo, s10
	s_cbranch_vccnz .LBB38_14
; %bb.13:
	v_mul_u64_e32 v[4:5], s[2:3], v[8:9]
.LBB38_14:
	s_cbranch_execz .LBB38_16
	s_branch .LBB38_19
.LBB38_15:
                                        ; implicit-def: $vgpr4_vgpr5
.LBB38_16:
	s_and_not1_b32 vcc_lo, exec_lo, s11
	s_cbranch_vccnz .LBB38_18
; %bb.17:
	v_mul_u64_e32 v[8:9], s[2:3], v[8:9]
.LBB38_18:
	s_delay_alu instid0(VALU_DEP_1)
	v_mov_b64_e32 v[4:5], v[8:9]
.LBB38_19:
	s_cmp_eq_u32 s15, 1
	s_cselect_b32 s12, -1, 0
	s_cmp_eq_u32 s13, 0x6f
	s_cselect_b32 s14, -1, 0
	s_cmp_lg_u32 s13, 0x6f
	s_cselect_b32 s11, -1, 0
	s_cmp_lg_u32 s15, 1
	s_cbranch_scc0 .LBB38_23
; %bb.20:
	v_mov_b64_e32 v[8:9], v[6:7]
	s_and_not1_b32 vcc_lo, exec_lo, s11
	s_cbranch_vccnz .LBB38_22
; %bb.21:
	v_mul_u64_e32 v[8:9], s[4:5], v[6:7]
.LBB38_22:
	s_cbranch_execz .LBB38_24
	s_branch .LBB38_27
.LBB38_23:
                                        ; implicit-def: $vgpr8_vgpr9
.LBB38_24:
	s_and_not1_b32 vcc_lo, exec_lo, s14
	s_cbranch_vccnz .LBB38_26
; %bb.25:
	v_mul_u64_e32 v[6:7], s[4:5], v[6:7]
.LBB38_26:
	s_delay_alu instid0(VALU_DEP_1)
	v_mov_b64_e32 v[8:9], v[6:7]
.LBB38_27:
	v_dual_mov_b32 v1, 0 :: v_dual_bitop2_b32 v0, 7, v0 bitop3:0x40
	s_mov_b32 s11, exec_lo
	s_delay_alu instid0(VALU_DEP_1)
	v_cmpx_gt_i64_e64 s[8:9], v[0:1]
	s_cbranch_execz .LBB38_31
; %bb.28:
	s_xor_b32 s7, s10, s7
	s_delay_alu instid0(VALU_DEP_3)
	v_lshlrev_b64_e32 v[8:9], 2, v[8:9]
	s_and_b32 s7, s7, exec_lo
	s_cselect_b32 s19, 0, s3
	s_cselect_b32 s18, 1, s2
	s_xor_b32 s2, s14, s12
	v_mul_u64_e32 v[12:13], s[18:19], v[0:1]
	s_and_b32 s2, s2, exec_lo
	s_cselect_b32 s3, s5, 0
	s_cselect_b32 s2, s4, 1
	s_clause 0x1
	s_load_b64 s[4:5], s[0:1], 0x48
	s_load_b64 s[12:13], s[0:1], 0x38
	v_mul_u64_e32 v[6:7], s[2:3], v[0:1]
	v_lshlrev_b64_e32 v[4:5], 2, v[4:5]
	v_mov_b32_e32 v11, 0
	s_mov_b32 s7, 0
	s_lshl_b64 s[2:3], s[2:3], 5
	s_delay_alu instid0(VALU_DEP_3) | instskip(NEXT) | instid1(VALU_DEP_3)
	v_lshl_add_u64 v[6:7], v[6:7], 2, v[8:9]
	v_lshl_add_u64 v[8:9], v[12:13], 2, v[4:5]
	s_wait_kmcnt 0x0
	s_delay_alu instid0(VALU_DEP_2) | instskip(NEXT) | instid1(VALU_DEP_2)
	v_add_nc_u64_e32 v[4:5], s[4:5], v[6:7]
	v_add_nc_u64_e32 v[6:7], s[12:13], v[8:9]
	v_mov_b64_e32 v[8:9], v[0:1]
	v_mov_b32_e32 v1, v11
	s_lshl_b64 s[4:5], s[18:19], 5
.LBB38_29:                              ; =>This Inner Loop Header: Depth=1
	global_load_b32 v11, v[6:7], off
	global_load_b32 v12, v[4:5], off
	v_add_nc_u64_e32 v[8:9], 8, v[8:9]
	s_wait_xcnt 0x0
	v_add_nc_u64_e32 v[4:5], s[2:3], v[4:5]
	v_add_nc_u64_e32 v[6:7], s[4:5], v[6:7]
	s_delay_alu instid0(VALU_DEP_3)
	v_cmp_le_i64_e32 vcc_lo, s[8:9], v[8:9]
	s_or_b32 s7, vcc_lo, s7
	s_wait_loadcnt 0x0
	v_fmac_f32_e32 v1, v11, v12
	s_and_not1_b32 exec_lo, exec_lo, s7
	s_cbranch_execnz .LBB38_29
; %bb.30:
	s_or_b32 exec_lo, exec_lo, s7
.LBB38_31:
	s_delay_alu instid0(SALU_CYCLE_1) | instskip(SKIP_3) | instid1(VALU_DEP_1)
	s_or_b32 exec_lo, exec_lo, s11
	s_load_b64 s[0:1], s[0:1], 0x60
	v_lshlrev_b32_e32 v4, 5, v10
	s_mov_b32 s2, exec_lo
	v_lshl_or_b32 v5, v0, 2, v4
	ds_store_b32 v5, v1
	s_wait_dscnt 0x0
	s_barrier_signal -1
	s_barrier_wait -1
	v_cmpx_gt_u32_e32 4, v0
	s_cbranch_execz .LBB38_33
; %bb.32:
	ds_load_2addr_b32 v[6:7], v5 offset1:4
	s_wait_dscnt 0x0
	v_add_f32_e32 v1, v7, v6
	ds_store_b32 v5, v1
.LBB38_33:
	s_or_b32 exec_lo, exec_lo, s2
	s_delay_alu instid0(SALU_CYCLE_1)
	s_mov_b32 s2, exec_lo
	s_wait_dscnt 0x0
	s_barrier_signal -1
	s_barrier_wait -1
	v_cmpx_gt_u32_e32 2, v0
	s_cbranch_execz .LBB38_35
; %bb.34:
	ds_load_2addr_b32 v[6:7], v5 offset1:2
	s_wait_dscnt 0x0
	v_add_f32_e32 v1, v7, v6
	ds_store_b32 v5, v1
.LBB38_35:
	s_or_b32 exec_lo, exec_lo, s2
	v_cmp_eq_u32_e32 vcc_lo, 0, v0
	s_wait_dscnt 0x0
	s_barrier_signal -1
	s_barrier_wait -1
	s_and_saveexec_b32 s2, vcc_lo
	s_cbranch_execz .LBB38_37
; %bb.36:
	ds_load_2addr_b32 v[0:1], v5 offset1:1
	s_wait_dscnt 0x0
	v_add_f32_e32 v0, v1, v0
	ds_store_b32 v5, v0
.LBB38_37:
	s_or_b32 exec_lo, exec_lo, s2
	s_wait_dscnt 0x0
	s_barrier_signal -1
	s_barrier_wait -1
	s_and_b32 exec_lo, exec_lo, vcc_lo
	s_cbranch_execz .LBB38_39
; %bb.38:
	s_wait_kmcnt 0x0
	v_lshl_add_u64 v[0:1], v[2:3], 2, s[0:1]
	ds_load_b32 v3, v4
	v_dual_mov_b32 v4, s6 :: v_dual_mov_b32 v5, s16
	global_load_b32 v2, v[0:1], off
	s_wait_loadcnt_dscnt 0x0
	v_pk_mul_f32 v[2:3], v[4:5], v[2:3]
	s_delay_alu instid0(VALU_DEP_1)
	v_add_f32_e32 v2, v2, v3
	global_store_b32 v[0:1], v2, off
.LBB38_39:
	s_endpgm
	.section	.rodata,"a",@progbits
	.p2align	6, 0x0
	.amdhsa_kernel _ZN9rocsparseL16sddmm_ell_kernelILi512ELi8EfllfffEEv20rocsparse_operation_S1_16rocsparse_order_S2_T3_S3_S3_T2_NS_24const_host_device_scalarIT1_EEPKT4_lPKT5_lS7_PT6_PKS3_21rocsparse_index_base_b
		.amdhsa_group_segment_fixed_size 2048
		.amdhsa_private_segment_fixed_size 0
		.amdhsa_kernarg_size 120
		.amdhsa_user_sgpr_count 2
		.amdhsa_user_sgpr_dispatch_ptr 0
		.amdhsa_user_sgpr_queue_ptr 0
		.amdhsa_user_sgpr_kernarg_segment_ptr 1
		.amdhsa_user_sgpr_dispatch_id 0
		.amdhsa_user_sgpr_kernarg_preload_length 0
		.amdhsa_user_sgpr_kernarg_preload_offset 0
		.amdhsa_user_sgpr_private_segment_size 0
		.amdhsa_wavefront_size32 1
		.amdhsa_uses_dynamic_stack 0
		.amdhsa_enable_private_segment 0
		.amdhsa_system_sgpr_workgroup_id_x 1
		.amdhsa_system_sgpr_workgroup_id_y 0
		.amdhsa_system_sgpr_workgroup_id_z 0
		.amdhsa_system_sgpr_workgroup_info 0
		.amdhsa_system_vgpr_workitem_id 0
		.amdhsa_next_free_vgpr 16
		.amdhsa_next_free_sgpr 28
		.amdhsa_named_barrier_count 0
		.amdhsa_reserve_vcc 1
		.amdhsa_float_round_mode_32 0
		.amdhsa_float_round_mode_16_64 0
		.amdhsa_float_denorm_mode_32 3
		.amdhsa_float_denorm_mode_16_64 3
		.amdhsa_fp16_overflow 0
		.amdhsa_memory_ordered 1
		.amdhsa_forward_progress 1
		.amdhsa_inst_pref_size 14
		.amdhsa_round_robin_scheduling 0
		.amdhsa_exception_fp_ieee_invalid_op 0
		.amdhsa_exception_fp_denorm_src 0
		.amdhsa_exception_fp_ieee_div_zero 0
		.amdhsa_exception_fp_ieee_overflow 0
		.amdhsa_exception_fp_ieee_underflow 0
		.amdhsa_exception_fp_ieee_inexact 0
		.amdhsa_exception_int_div_zero 0
	.end_amdhsa_kernel
	.section	.text._ZN9rocsparseL16sddmm_ell_kernelILi512ELi8EfllfffEEv20rocsparse_operation_S1_16rocsparse_order_S2_T3_S3_S3_T2_NS_24const_host_device_scalarIT1_EEPKT4_lPKT5_lS7_PT6_PKS3_21rocsparse_index_base_b,"axG",@progbits,_ZN9rocsparseL16sddmm_ell_kernelILi512ELi8EfllfffEEv20rocsparse_operation_S1_16rocsparse_order_S2_T3_S3_S3_T2_NS_24const_host_device_scalarIT1_EEPKT4_lPKT5_lS7_PT6_PKS3_21rocsparse_index_base_b,comdat
.Lfunc_end38:
	.size	_ZN9rocsparseL16sddmm_ell_kernelILi512ELi8EfllfffEEv20rocsparse_operation_S1_16rocsparse_order_S2_T3_S3_S3_T2_NS_24const_host_device_scalarIT1_EEPKT4_lPKT5_lS7_PT6_PKS3_21rocsparse_index_base_b, .Lfunc_end38-_ZN9rocsparseL16sddmm_ell_kernelILi512ELi8EfllfffEEv20rocsparse_operation_S1_16rocsparse_order_S2_T3_S3_S3_T2_NS_24const_host_device_scalarIT1_EEPKT4_lPKT5_lS7_PT6_PKS3_21rocsparse_index_base_b
                                        ; -- End function
	.set _ZN9rocsparseL16sddmm_ell_kernelILi512ELi8EfllfffEEv20rocsparse_operation_S1_16rocsparse_order_S2_T3_S3_S3_T2_NS_24const_host_device_scalarIT1_EEPKT4_lPKT5_lS7_PT6_PKS3_21rocsparse_index_base_b.num_vgpr, 16
	.set _ZN9rocsparseL16sddmm_ell_kernelILi512ELi8EfllfffEEv20rocsparse_operation_S1_16rocsparse_order_S2_T3_S3_S3_T2_NS_24const_host_device_scalarIT1_EEPKT4_lPKT5_lS7_PT6_PKS3_21rocsparse_index_base_b.num_agpr, 0
	.set _ZN9rocsparseL16sddmm_ell_kernelILi512ELi8EfllfffEEv20rocsparse_operation_S1_16rocsparse_order_S2_T3_S3_S3_T2_NS_24const_host_device_scalarIT1_EEPKT4_lPKT5_lS7_PT6_PKS3_21rocsparse_index_base_b.numbered_sgpr, 28
	.set _ZN9rocsparseL16sddmm_ell_kernelILi512ELi8EfllfffEEv20rocsparse_operation_S1_16rocsparse_order_S2_T3_S3_S3_T2_NS_24const_host_device_scalarIT1_EEPKT4_lPKT5_lS7_PT6_PKS3_21rocsparse_index_base_b.num_named_barrier, 0
	.set _ZN9rocsparseL16sddmm_ell_kernelILi512ELi8EfllfffEEv20rocsparse_operation_S1_16rocsparse_order_S2_T3_S3_S3_T2_NS_24const_host_device_scalarIT1_EEPKT4_lPKT5_lS7_PT6_PKS3_21rocsparse_index_base_b.private_seg_size, 0
	.set _ZN9rocsparseL16sddmm_ell_kernelILi512ELi8EfllfffEEv20rocsparse_operation_S1_16rocsparse_order_S2_T3_S3_S3_T2_NS_24const_host_device_scalarIT1_EEPKT4_lPKT5_lS7_PT6_PKS3_21rocsparse_index_base_b.uses_vcc, 1
	.set _ZN9rocsparseL16sddmm_ell_kernelILi512ELi8EfllfffEEv20rocsparse_operation_S1_16rocsparse_order_S2_T3_S3_S3_T2_NS_24const_host_device_scalarIT1_EEPKT4_lPKT5_lS7_PT6_PKS3_21rocsparse_index_base_b.uses_flat_scratch, 0
	.set _ZN9rocsparseL16sddmm_ell_kernelILi512ELi8EfllfffEEv20rocsparse_operation_S1_16rocsparse_order_S2_T3_S3_S3_T2_NS_24const_host_device_scalarIT1_EEPKT4_lPKT5_lS7_PT6_PKS3_21rocsparse_index_base_b.has_dyn_sized_stack, 0
	.set _ZN9rocsparseL16sddmm_ell_kernelILi512ELi8EfllfffEEv20rocsparse_operation_S1_16rocsparse_order_S2_T3_S3_S3_T2_NS_24const_host_device_scalarIT1_EEPKT4_lPKT5_lS7_PT6_PKS3_21rocsparse_index_base_b.has_recursion, 0
	.set _ZN9rocsparseL16sddmm_ell_kernelILi512ELi8EfllfffEEv20rocsparse_operation_S1_16rocsparse_order_S2_T3_S3_S3_T2_NS_24const_host_device_scalarIT1_EEPKT4_lPKT5_lS7_PT6_PKS3_21rocsparse_index_base_b.has_indirect_call, 0
	.section	.AMDGPU.csdata,"",@progbits
; Kernel info:
; codeLenInByte = 1744
; TotalNumSgprs: 30
; NumVgprs: 16
; ScratchSize: 0
; MemoryBound: 0
; FloatMode: 240
; IeeeMode: 1
; LDSByteSize: 2048 bytes/workgroup (compile time only)
; SGPRBlocks: 0
; VGPRBlocks: 0
; NumSGPRsForWavesPerEU: 30
; NumVGPRsForWavesPerEU: 16
; NamedBarCnt: 0
; Occupancy: 16
; WaveLimiterHint : 0
; COMPUTE_PGM_RSRC2:SCRATCH_EN: 0
; COMPUTE_PGM_RSRC2:USER_SGPR: 2
; COMPUTE_PGM_RSRC2:TRAP_HANDLER: 0
; COMPUTE_PGM_RSRC2:TGID_X_EN: 1
; COMPUTE_PGM_RSRC2:TGID_Y_EN: 0
; COMPUTE_PGM_RSRC2:TGID_Z_EN: 0
; COMPUTE_PGM_RSRC2:TIDIG_COMP_CNT: 0
	.section	.text._ZN9rocsparseL16sddmm_ell_kernelILi512ELi4EfllfffEEv20rocsparse_operation_S1_16rocsparse_order_S2_T3_S3_S3_T2_NS_24const_host_device_scalarIT1_EEPKT4_lPKT5_lS7_PT6_PKS3_21rocsparse_index_base_b,"axG",@progbits,_ZN9rocsparseL16sddmm_ell_kernelILi512ELi4EfllfffEEv20rocsparse_operation_S1_16rocsparse_order_S2_T3_S3_S3_T2_NS_24const_host_device_scalarIT1_EEPKT4_lPKT5_lS7_PT6_PKS3_21rocsparse_index_base_b,comdat
	.globl	_ZN9rocsparseL16sddmm_ell_kernelILi512ELi4EfllfffEEv20rocsparse_operation_S1_16rocsparse_order_S2_T3_S3_S3_T2_NS_24const_host_device_scalarIT1_EEPKT4_lPKT5_lS7_PT6_PKS3_21rocsparse_index_base_b ; -- Begin function _ZN9rocsparseL16sddmm_ell_kernelILi512ELi4EfllfffEEv20rocsparse_operation_S1_16rocsparse_order_S2_T3_S3_S3_T2_NS_24const_host_device_scalarIT1_EEPKT4_lPKT5_lS7_PT6_PKS3_21rocsparse_index_base_b
	.p2align	8
	.type	_ZN9rocsparseL16sddmm_ell_kernelILi512ELi4EfllfffEEv20rocsparse_operation_S1_16rocsparse_order_S2_T3_S3_S3_T2_NS_24const_host_device_scalarIT1_EEPKT4_lPKT5_lS7_PT6_PKS3_21rocsparse_index_base_b,@function
_ZN9rocsparseL16sddmm_ell_kernelILi512ELi4EfllfffEEv20rocsparse_operation_S1_16rocsparse_order_S2_T3_S3_S3_T2_NS_24const_host_device_scalarIT1_EEPKT4_lPKT5_lS7_PT6_PKS3_21rocsparse_index_base_b: ; @_ZN9rocsparseL16sddmm_ell_kernelILi512ELi4EfllfffEEv20rocsparse_operation_S1_16rocsparse_order_S2_T3_S3_S3_T2_NS_24const_host_device_scalarIT1_EEPKT4_lPKT5_lS7_PT6_PKS3_21rocsparse_index_base_b
; %bb.0:
	s_clause 0x2
	s_load_b64 s[12:13], s[0:1], 0x70
	s_load_b64 s[16:17], s[0:1], 0x30
	s_load_b128 s[4:7], s[0:1], 0x50
	s_wait_kmcnt 0x0
	s_bitcmp1_b32 s13, 0
	s_cselect_b32 s2, -1, 0
	s_delay_alu instid0(SALU_CYCLE_1)
	s_and_b32 vcc_lo, exec_lo, s2
	s_xor_b32 s2, s2, -1
	s_cbranch_vccnz .LBB39_2
; %bb.1:
	s_load_b32 s16, s[16:17], 0x0
.LBB39_2:
	s_and_not1_b32 vcc_lo, exec_lo, s2
	s_cbranch_vccnz .LBB39_4
; %bb.3:
	s_load_b32 s6, s[6:7], 0x0
.LBB39_4:
	s_wait_kmcnt 0x0
	s_cmp_eq_f32 s16, 0
	s_cselect_b32 s2, -1, 0
	s_cmp_eq_f32 s6, 1.0
	s_cselect_b32 s3, -1, 0
	s_delay_alu instid0(SALU_CYCLE_1) | instskip(NEXT) | instid1(SALU_CYCLE_1)
	s_and_b32 s2, s2, s3
	s_and_b32 vcc_lo, exec_lo, s2
	s_cbranch_vccnz .LBB39_37
; %bb.5:
	s_load_b128 s[8:11], s[0:1], 0x20
	s_bfe_u32 s2, ttmp6, 0x4000c
	s_and_b32 s3, ttmp6, 15
	s_add_co_i32 s2, s2, 1
	s_getreg_b32 s7, hwreg(HW_REG_IB_STS2, 6, 4)
	s_mul_i32 s2, ttmp9, s2
	v_dual_mov_b32 v3, 0 :: v_dual_lshrrev_b32 v10, 2, v0
	s_add_co_i32 s3, s3, s2
	s_cmp_eq_u32 s7, 0
	s_cselect_b32 s2, ttmp9, s3
	s_delay_alu instid0(VALU_DEP_1) | instid1(SALU_CYCLE_1)
	v_lshl_or_b32 v2, s2, 7, v10
	s_mov_b32 s2, exec_lo
	s_wait_kmcnt 0x0
	s_delay_alu instid0(VALU_DEP_1)
	v_cmpx_gt_i64_e64 s[10:11], v[2:3]
	s_cbranch_execz .LBB39_37
; %bb.6:
	s_load_b64 s[10:11], s[0:1], 0x10
                                        ; implicit-def: $vgpr8_vgpr9
	s_wait_kmcnt 0x0
	s_and_b64 s[2:3], s[10:11], 0xffffffff00000000
	s_delay_alu instid0(SALU_CYCLE_1) | instskip(SKIP_1) | instid1(SALU_CYCLE_1)
	s_cmp_lg_u64 s[2:3], 0
	s_cselect_b32 s2, -1, 0
	s_and_saveexec_b32 s3, s2
	s_delay_alu instid0(SALU_CYCLE_1)
	s_xor_b32 s3, exec_lo, s3
	s_cbranch_execz .LBB39_8
; %bb.7:
	s_ashr_i32 s14, s11, 31
	s_mov_b32 s25, 0
	s_mov_b32 s15, s14
	v_add_nc_u64_e32 v[4:5], 0, v[2:3]
	s_add_nc_u64 s[18:19], s[10:11], s[14:15]
	v_mov_b32_e32 v7, 0
	s_xor_b64 s[14:15], s[18:19], s[14:15]
	s_delay_alu instid0(SALU_CYCLE_1) | instskip(SKIP_3) | instid1(SALU_CYCLE_1)
	s_cvt_f32_u32 s2, s14
	s_cvt_f32_u32 s7, s15
	s_sub_nc_u64 s[20:21], 0, s[14:15]
	v_mov_b32_e32 v6, v4
	s_fmamk_f32 s2, s7, 0x4f800000, s2
	s_delay_alu instid0(SALU_CYCLE_3) | instskip(NEXT) | instid1(TRANS32_DEP_1)
	v_s_rcp_f32 s2, s2
	s_mul_f32 s2, s2, 0x5f7ffffc
	s_delay_alu instid0(SALU_CYCLE_3) | instskip(NEXT) | instid1(SALU_CYCLE_3)
	s_mul_f32 s7, s2, 0x2f800000
	s_trunc_f32 s7, s7
	s_delay_alu instid0(SALU_CYCLE_3) | instskip(SKIP_1) | instid1(SALU_CYCLE_2)
	s_fmamk_f32 s2, s7, 0xcf800000, s2
	s_cvt_u32_f32 s19, s7
	s_cvt_u32_f32 s18, s2
	s_delay_alu instid0(SALU_CYCLE_3) | instskip(NEXT) | instid1(SALU_CYCLE_1)
	s_mul_u64 s[22:23], s[20:21], s[18:19]
	s_mul_hi_u32 s27, s18, s23
	s_mul_i32 s26, s18, s23
	s_mul_hi_u32 s24, s18, s22
	s_mul_i32 s7, s19, s22
	s_add_nc_u64 s[26:27], s[24:25], s[26:27]
	s_mul_hi_u32 s2, s19, s22
	s_mul_hi_u32 s11, s19, s23
	s_add_co_u32 s7, s26, s7
	s_add_co_ci_u32 s24, s27, s2
	s_mul_i32 s22, s19, s23
	s_add_co_ci_u32 s23, s11, 0
	s_delay_alu instid0(SALU_CYCLE_1) | instskip(NEXT) | instid1(SALU_CYCLE_1)
	s_add_nc_u64 s[22:23], s[24:25], s[22:23]
	s_add_co_u32 s18, s18, s22
	s_cselect_b32 s2, -1, 0
	s_delay_alu instid0(SALU_CYCLE_1) | instskip(SKIP_1) | instid1(SALU_CYCLE_1)
	s_cmp_lg_u32 s2, 0
	s_add_co_ci_u32 s19, s19, s23
	s_mul_u64 s[20:21], s[20:21], s[18:19]
	s_delay_alu instid0(SALU_CYCLE_1)
	s_mul_hi_u32 s23, s18, s21
	s_mul_i32 s22, s18, s21
	s_mul_hi_u32 s24, s18, s20
	s_mul_i32 s7, s19, s20
	s_add_nc_u64 s[22:23], s[24:25], s[22:23]
	s_mul_hi_u32 s2, s19, s20
	s_mul_hi_u32 s11, s19, s21
	s_add_co_u32 s7, s22, s7
	s_add_co_ci_u32 s24, s23, s2
	s_mul_i32 s20, s19, s21
	s_add_co_ci_u32 s21, s11, 0
	s_delay_alu instid0(SALU_CYCLE_1) | instskip(NEXT) | instid1(SALU_CYCLE_1)
	s_add_nc_u64 s[20:21], s[24:25], s[20:21]
	s_add_co_u32 s2, s18, s20
	s_cselect_b32 s7, -1, 0
	s_delay_alu instid0(SALU_CYCLE_1)
	s_cmp_lg_u32 s7, 0
	s_add_co_ci_u32 s24, s19, s21
	s_mov_b64 s[18:19], 0xffffffff
	v_mul_u64_e32 v[8:9], s[24:25], v[6:7]
	v_mul_hi_u32 v6, v4, s2
	s_and_b64 s[18:19], s[2:3], s[18:19]
	s_delay_alu instid0(VALU_DEP_1) | instskip(SKIP_1) | instid1(VALU_DEP_1)
	v_add_nc_u64_e32 v[8:9], v[6:7], v[8:9]
	v_mov_b32_e32 v6, v5
	v_mul_u64_e32 v[12:13], s[18:19], v[6:7]
	v_mul_u64_e32 v[14:15], s[24:25], v[6:7]
	s_delay_alu instid0(VALU_DEP_2) | instskip(NEXT) | instid1(VALU_DEP_3)
	v_add_co_u32 v1, vcc_lo, v8, v12
	v_add_co_ci_u32_e32 v6, vcc_lo, v9, v13, vcc_lo
	s_delay_alu instid0(VALU_DEP_3) | instskip(NEXT) | instid1(VALU_DEP_1)
	v_add_co_ci_u32_e32 v15, vcc_lo, 0, v15, vcc_lo
	v_add_nc_u64_e32 v[6:7], v[6:7], v[14:15]
	s_delay_alu instid0(VALU_DEP_1) | instskip(NEXT) | instid1(VALU_DEP_1)
	v_mul_u64_e32 v[6:7], s[14:15], v[6:7]
	v_sub_nc_u32_e32 v1, v5, v7
	s_delay_alu instid0(VALU_DEP_2) | instskip(NEXT) | instid1(VALU_DEP_1)
	v_sub_co_u32 v4, vcc_lo, v4, v6
	v_sub_co_ci_u32_e64 v5, null, v5, v7, vcc_lo
	s_delay_alu instid0(VALU_DEP_3) | instskip(NEXT) | instid1(VALU_DEP_3)
	v_subrev_co_ci_u32_e64 v1, null, s15, v1, vcc_lo
	v_sub_co_u32 v6, vcc_lo, v4, s14
	v_cmp_le_u32_e64 s2, s14, v4
	s_delay_alu instid0(VALU_DEP_3) | instskip(SKIP_1) | instid1(VALU_DEP_3)
	v_subrev_co_ci_u32_e64 v7, null, 0, v1, vcc_lo
	v_subrev_co_ci_u32_e64 v1, null, s15, v1, vcc_lo
	v_cndmask_b32_e64 v8, 0, -1, s2
	v_cmp_le_u32_e64 s2, s14, v6
	v_cmp_le_u32_e32 vcc_lo, s15, v5
	s_delay_alu instid0(VALU_DEP_2) | instskip(SKIP_3) | instid1(VALU_DEP_3)
	v_cndmask_b32_e64 v9, 0, -1, s2
	v_cmp_le_u32_e64 s2, s15, v7
	v_cndmask_b32_e64 v12, 0, -1, vcc_lo
	v_cmp_eq_u32_e32 vcc_lo, s15, v7
	v_cndmask_b32_e64 v11, 0, -1, s2
	v_cmp_eq_u32_e64 s2, s15, v5
	s_delay_alu instid0(VALU_DEP_1) | instskip(SKIP_1) | instid1(VALU_DEP_1)
	v_dual_cndmask_b32 v9, v11, v9, vcc_lo :: v_dual_cndmask_b32 v8, v12, v8, s2
	v_sub_co_u32 v11, vcc_lo, v6, s14
	v_subrev_co_ci_u32_e64 v1, null, 0, v1, vcc_lo
	s_delay_alu instid0(VALU_DEP_3) | instskip(NEXT) | instid1(VALU_DEP_2)
	v_cmp_ne_u32_e32 vcc_lo, 0, v9
	v_dual_cndmask_b32 v1, v7, v1 :: v_dual_cndmask_b32 v6, v6, v11
	v_cmp_ne_u32_e32 vcc_lo, 0, v8
	s_delay_alu instid0(VALU_DEP_2) | instskip(NEXT) | instid1(VALU_DEP_1)
	v_dual_cndmask_b32 v5, v5, v1 :: v_dual_cndmask_b32 v4, v4, v6
	v_sub_nc_u64_e64 v[8:9], v[4:5], 0
.LBB39_8:
	s_or_saveexec_b32 s7, s3
	s_load_b64 s[2:3], s[0:1], 0x68
	s_xor_b32 exec_lo, exec_lo, s7
	s_cbranch_execz .LBB39_10
; %bb.9:
	v_cvt_f32_u32_e32 v1, s10
	s_sub_co_i32 s11, 0, s10
	v_mov_b32_e32 v9, 0
	s_delay_alu instid0(VALU_DEP_2) | instskip(SKIP_1) | instid1(TRANS32_DEP_1)
	v_rcp_iflag_f32_e32 v1, v1
	v_nop
	v_mul_f32_e32 v1, 0x4f7ffffe, v1
	s_delay_alu instid0(VALU_DEP_1) | instskip(NEXT) | instid1(VALU_DEP_1)
	v_cvt_u32_f32_e32 v1, v1
	v_mul_lo_u32 v4, s11, v1
	s_delay_alu instid0(VALU_DEP_1) | instskip(NEXT) | instid1(VALU_DEP_1)
	v_mul_hi_u32 v4, v1, v4
	v_add_nc_u32_e32 v1, v1, v4
	s_delay_alu instid0(VALU_DEP_1) | instskip(NEXT) | instid1(VALU_DEP_1)
	v_mul_hi_u32 v1, v2, v1
	v_mul_lo_u32 v1, v1, s10
	s_delay_alu instid0(VALU_DEP_1) | instskip(NEXT) | instid1(VALU_DEP_1)
	v_sub_nc_u32_e32 v1, v2, v1
	v_subrev_nc_u32_e32 v4, s10, v1
	v_cmp_le_u32_e32 vcc_lo, s10, v1
	s_delay_alu instid0(VALU_DEP_2) | instskip(NEXT) | instid1(VALU_DEP_1)
	v_cndmask_b32_e32 v1, v1, v4, vcc_lo
	v_subrev_nc_u32_e32 v4, s10, v1
	v_cmp_le_u32_e32 vcc_lo, s10, v1
	s_delay_alu instid0(VALU_DEP_2)
	v_cndmask_b32_e32 v8, v1, v4, vcc_lo
.LBB39_10:
	s_or_b32 exec_lo, exec_lo, s7
	s_wait_kmcnt 0x0
	v_lshl_add_u64 v[4:5], v[2:3], 3, s[2:3]
	s_mov_b32 s13, 0
	global_load_b64 v[4:5], v[4:5], off
	s_wait_loadcnt 0x0
	v_sub_nc_u64_e64 v[6:7], v[4:5], s[12:13]
	s_delay_alu instid0(VALU_DEP_1)
	v_cmp_lt_i64_e32 vcc_lo, -1, v[6:7]
	s_and_b32 exec_lo, exec_lo, vcc_lo
	s_cbranch_execz .LBB39_37
; %bb.11:
	s_clause 0x1
	s_load_b128 s[12:15], s[0:1], 0x0
	s_load_b64 s[2:3], s[0:1], 0x40
	s_wait_kmcnt 0x0
	s_cmp_eq_u32 s14, 1
	s_cselect_b32 s7, -1, 0
	s_cmp_eq_u32 s12, 0x6f
	s_cselect_b32 s10, -1, 0
	s_cmp_lg_u32 s12, 0x6f
	s_cselect_b32 s11, -1, 0
	s_cmp_lg_u32 s14, 1
	s_cbranch_scc0 .LBB39_15
; %bb.12:
	v_mov_b64_e32 v[4:5], v[8:9]
	s_and_not1_b32 vcc_lo, exec_lo, s10
	s_cbranch_vccnz .LBB39_14
; %bb.13:
	v_mul_u64_e32 v[4:5], s[2:3], v[8:9]
.LBB39_14:
	s_cbranch_execz .LBB39_16
	s_branch .LBB39_19
.LBB39_15:
                                        ; implicit-def: $vgpr4_vgpr5
.LBB39_16:
	s_and_not1_b32 vcc_lo, exec_lo, s11
	s_cbranch_vccnz .LBB39_18
; %bb.17:
	v_mul_u64_e32 v[8:9], s[2:3], v[8:9]
.LBB39_18:
	s_delay_alu instid0(VALU_DEP_1)
	v_mov_b64_e32 v[4:5], v[8:9]
.LBB39_19:
	s_cmp_eq_u32 s15, 1
	s_cselect_b32 s12, -1, 0
	s_cmp_eq_u32 s13, 0x6f
	s_cselect_b32 s14, -1, 0
	s_cmp_lg_u32 s13, 0x6f
	s_cselect_b32 s11, -1, 0
	s_cmp_lg_u32 s15, 1
	s_cbranch_scc0 .LBB39_23
; %bb.20:
	v_mov_b64_e32 v[8:9], v[6:7]
	s_and_not1_b32 vcc_lo, exec_lo, s11
	s_cbranch_vccnz .LBB39_22
; %bb.21:
	v_mul_u64_e32 v[8:9], s[4:5], v[6:7]
.LBB39_22:
	s_cbranch_execz .LBB39_24
	s_branch .LBB39_27
.LBB39_23:
                                        ; implicit-def: $vgpr8_vgpr9
.LBB39_24:
	s_and_not1_b32 vcc_lo, exec_lo, s14
	s_cbranch_vccnz .LBB39_26
; %bb.25:
	v_mul_u64_e32 v[6:7], s[4:5], v[6:7]
.LBB39_26:
	s_delay_alu instid0(VALU_DEP_1)
	v_mov_b64_e32 v[8:9], v[6:7]
.LBB39_27:
	v_dual_mov_b32 v1, 0 :: v_dual_bitop2_b32 v0, 3, v0 bitop3:0x40
	s_mov_b32 s11, exec_lo
	s_delay_alu instid0(VALU_DEP_1)
	v_cmpx_gt_i64_e64 s[8:9], v[0:1]
	s_cbranch_execz .LBB39_31
; %bb.28:
	s_xor_b32 s7, s10, s7
	s_delay_alu instid0(VALU_DEP_3)
	v_lshlrev_b64_e32 v[8:9], 2, v[8:9]
	s_and_b32 s7, s7, exec_lo
	s_cselect_b32 s19, 0, s3
	s_cselect_b32 s18, 1, s2
	s_xor_b32 s2, s14, s12
	v_mul_u64_e32 v[12:13], s[18:19], v[0:1]
	s_and_b32 s2, s2, exec_lo
	s_cselect_b32 s3, s5, 0
	s_cselect_b32 s2, s4, 1
	s_clause 0x1
	s_load_b64 s[4:5], s[0:1], 0x48
	s_load_b64 s[12:13], s[0:1], 0x38
	v_mul_u64_e32 v[6:7], s[2:3], v[0:1]
	v_lshlrev_b64_e32 v[4:5], 2, v[4:5]
	v_mov_b32_e32 v11, 0
	s_mov_b32 s7, 0
	s_lshl_b64 s[2:3], s[2:3], 4
	s_delay_alu instid0(VALU_DEP_3) | instskip(NEXT) | instid1(VALU_DEP_3)
	v_lshl_add_u64 v[6:7], v[6:7], 2, v[8:9]
	v_lshl_add_u64 v[8:9], v[12:13], 2, v[4:5]
	s_wait_kmcnt 0x0
	s_delay_alu instid0(VALU_DEP_2) | instskip(NEXT) | instid1(VALU_DEP_2)
	v_add_nc_u64_e32 v[4:5], s[4:5], v[6:7]
	v_add_nc_u64_e32 v[6:7], s[12:13], v[8:9]
	v_mov_b64_e32 v[8:9], v[0:1]
	v_mov_b32_e32 v1, v11
	s_lshl_b64 s[4:5], s[18:19], 4
.LBB39_29:                              ; =>This Inner Loop Header: Depth=1
	global_load_b32 v11, v[6:7], off
	global_load_b32 v12, v[4:5], off
	v_add_nc_u64_e32 v[8:9], 4, v[8:9]
	s_wait_xcnt 0x0
	v_add_nc_u64_e32 v[4:5], s[2:3], v[4:5]
	v_add_nc_u64_e32 v[6:7], s[4:5], v[6:7]
	s_delay_alu instid0(VALU_DEP_3)
	v_cmp_le_i64_e32 vcc_lo, s[8:9], v[8:9]
	s_or_b32 s7, vcc_lo, s7
	s_wait_loadcnt 0x0
	v_fmac_f32_e32 v1, v11, v12
	s_and_not1_b32 exec_lo, exec_lo, s7
	s_cbranch_execnz .LBB39_29
; %bb.30:
	s_or_b32 exec_lo, exec_lo, s7
.LBB39_31:
	s_delay_alu instid0(SALU_CYCLE_1) | instskip(SKIP_3) | instid1(VALU_DEP_1)
	s_or_b32 exec_lo, exec_lo, s11
	s_load_b64 s[0:1], s[0:1], 0x60
	v_lshlrev_b32_e32 v4, 4, v10
	s_mov_b32 s2, exec_lo
	v_lshl_or_b32 v5, v0, 2, v4
	ds_store_b32 v5, v1
	s_wait_dscnt 0x0
	s_barrier_signal -1
	s_barrier_wait -1
	v_cmpx_gt_u32_e32 2, v0
	s_cbranch_execz .LBB39_33
; %bb.32:
	ds_load_2addr_b32 v[6:7], v5 offset1:2
	s_wait_dscnt 0x0
	v_add_f32_e32 v1, v7, v6
	ds_store_b32 v5, v1
.LBB39_33:
	s_or_b32 exec_lo, exec_lo, s2
	v_cmp_eq_u32_e32 vcc_lo, 0, v0
	s_wait_dscnt 0x0
	s_barrier_signal -1
	s_barrier_wait -1
	s_and_saveexec_b32 s2, vcc_lo
	s_cbranch_execz .LBB39_35
; %bb.34:
	ds_load_2addr_b32 v[0:1], v5 offset1:1
	s_wait_dscnt 0x0
	v_add_f32_e32 v0, v1, v0
	ds_store_b32 v5, v0
.LBB39_35:
	s_or_b32 exec_lo, exec_lo, s2
	s_wait_dscnt 0x0
	s_barrier_signal -1
	s_barrier_wait -1
	s_and_b32 exec_lo, exec_lo, vcc_lo
	s_cbranch_execz .LBB39_37
; %bb.36:
	s_wait_kmcnt 0x0
	v_lshl_add_u64 v[0:1], v[2:3], 2, s[0:1]
	ds_load_b32 v3, v4
	v_dual_mov_b32 v4, s6 :: v_dual_mov_b32 v5, s16
	global_load_b32 v2, v[0:1], off
	s_wait_loadcnt_dscnt 0x0
	v_pk_mul_f32 v[2:3], v[4:5], v[2:3]
	s_delay_alu instid0(VALU_DEP_1)
	v_add_f32_e32 v2, v2, v3
	global_store_b32 v[0:1], v2, off
.LBB39_37:
	s_endpgm
	.section	.rodata,"a",@progbits
	.p2align	6, 0x0
	.amdhsa_kernel _ZN9rocsparseL16sddmm_ell_kernelILi512ELi4EfllfffEEv20rocsparse_operation_S1_16rocsparse_order_S2_T3_S3_S3_T2_NS_24const_host_device_scalarIT1_EEPKT4_lPKT5_lS7_PT6_PKS3_21rocsparse_index_base_b
		.amdhsa_group_segment_fixed_size 2048
		.amdhsa_private_segment_fixed_size 0
		.amdhsa_kernarg_size 120
		.amdhsa_user_sgpr_count 2
		.amdhsa_user_sgpr_dispatch_ptr 0
		.amdhsa_user_sgpr_queue_ptr 0
		.amdhsa_user_sgpr_kernarg_segment_ptr 1
		.amdhsa_user_sgpr_dispatch_id 0
		.amdhsa_user_sgpr_kernarg_preload_length 0
		.amdhsa_user_sgpr_kernarg_preload_offset 0
		.amdhsa_user_sgpr_private_segment_size 0
		.amdhsa_wavefront_size32 1
		.amdhsa_uses_dynamic_stack 0
		.amdhsa_enable_private_segment 0
		.amdhsa_system_sgpr_workgroup_id_x 1
		.amdhsa_system_sgpr_workgroup_id_y 0
		.amdhsa_system_sgpr_workgroup_id_z 0
		.amdhsa_system_sgpr_workgroup_info 0
		.amdhsa_system_vgpr_workitem_id 0
		.amdhsa_next_free_vgpr 16
		.amdhsa_next_free_sgpr 28
		.amdhsa_named_barrier_count 0
		.amdhsa_reserve_vcc 1
		.amdhsa_float_round_mode_32 0
		.amdhsa_float_round_mode_16_64 0
		.amdhsa_float_denorm_mode_32 3
		.amdhsa_float_denorm_mode_16_64 3
		.amdhsa_fp16_overflow 0
		.amdhsa_memory_ordered 1
		.amdhsa_forward_progress 1
		.amdhsa_inst_pref_size 14
		.amdhsa_round_robin_scheduling 0
		.amdhsa_exception_fp_ieee_invalid_op 0
		.amdhsa_exception_fp_denorm_src 0
		.amdhsa_exception_fp_ieee_div_zero 0
		.amdhsa_exception_fp_ieee_overflow 0
		.amdhsa_exception_fp_ieee_underflow 0
		.amdhsa_exception_fp_ieee_inexact 0
		.amdhsa_exception_int_div_zero 0
	.end_amdhsa_kernel
	.section	.text._ZN9rocsparseL16sddmm_ell_kernelILi512ELi4EfllfffEEv20rocsparse_operation_S1_16rocsparse_order_S2_T3_S3_S3_T2_NS_24const_host_device_scalarIT1_EEPKT4_lPKT5_lS7_PT6_PKS3_21rocsparse_index_base_b,"axG",@progbits,_ZN9rocsparseL16sddmm_ell_kernelILi512ELi4EfllfffEEv20rocsparse_operation_S1_16rocsparse_order_S2_T3_S3_S3_T2_NS_24const_host_device_scalarIT1_EEPKT4_lPKT5_lS7_PT6_PKS3_21rocsparse_index_base_b,comdat
.Lfunc_end39:
	.size	_ZN9rocsparseL16sddmm_ell_kernelILi512ELi4EfllfffEEv20rocsparse_operation_S1_16rocsparse_order_S2_T3_S3_S3_T2_NS_24const_host_device_scalarIT1_EEPKT4_lPKT5_lS7_PT6_PKS3_21rocsparse_index_base_b, .Lfunc_end39-_ZN9rocsparseL16sddmm_ell_kernelILi512ELi4EfllfffEEv20rocsparse_operation_S1_16rocsparse_order_S2_T3_S3_S3_T2_NS_24const_host_device_scalarIT1_EEPKT4_lPKT5_lS7_PT6_PKS3_21rocsparse_index_base_b
                                        ; -- End function
	.set _ZN9rocsparseL16sddmm_ell_kernelILi512ELi4EfllfffEEv20rocsparse_operation_S1_16rocsparse_order_S2_T3_S3_S3_T2_NS_24const_host_device_scalarIT1_EEPKT4_lPKT5_lS7_PT6_PKS3_21rocsparse_index_base_b.num_vgpr, 16
	.set _ZN9rocsparseL16sddmm_ell_kernelILi512ELi4EfllfffEEv20rocsparse_operation_S1_16rocsparse_order_S2_T3_S3_S3_T2_NS_24const_host_device_scalarIT1_EEPKT4_lPKT5_lS7_PT6_PKS3_21rocsparse_index_base_b.num_agpr, 0
	.set _ZN9rocsparseL16sddmm_ell_kernelILi512ELi4EfllfffEEv20rocsparse_operation_S1_16rocsparse_order_S2_T3_S3_S3_T2_NS_24const_host_device_scalarIT1_EEPKT4_lPKT5_lS7_PT6_PKS3_21rocsparse_index_base_b.numbered_sgpr, 28
	.set _ZN9rocsparseL16sddmm_ell_kernelILi512ELi4EfllfffEEv20rocsparse_operation_S1_16rocsparse_order_S2_T3_S3_S3_T2_NS_24const_host_device_scalarIT1_EEPKT4_lPKT5_lS7_PT6_PKS3_21rocsparse_index_base_b.num_named_barrier, 0
	.set _ZN9rocsparseL16sddmm_ell_kernelILi512ELi4EfllfffEEv20rocsparse_operation_S1_16rocsparse_order_S2_T3_S3_S3_T2_NS_24const_host_device_scalarIT1_EEPKT4_lPKT5_lS7_PT6_PKS3_21rocsparse_index_base_b.private_seg_size, 0
	.set _ZN9rocsparseL16sddmm_ell_kernelILi512ELi4EfllfffEEv20rocsparse_operation_S1_16rocsparse_order_S2_T3_S3_S3_T2_NS_24const_host_device_scalarIT1_EEPKT4_lPKT5_lS7_PT6_PKS3_21rocsparse_index_base_b.uses_vcc, 1
	.set _ZN9rocsparseL16sddmm_ell_kernelILi512ELi4EfllfffEEv20rocsparse_operation_S1_16rocsparse_order_S2_T3_S3_S3_T2_NS_24const_host_device_scalarIT1_EEPKT4_lPKT5_lS7_PT6_PKS3_21rocsparse_index_base_b.uses_flat_scratch, 0
	.set _ZN9rocsparseL16sddmm_ell_kernelILi512ELi4EfllfffEEv20rocsparse_operation_S1_16rocsparse_order_S2_T3_S3_S3_T2_NS_24const_host_device_scalarIT1_EEPKT4_lPKT5_lS7_PT6_PKS3_21rocsparse_index_base_b.has_dyn_sized_stack, 0
	.set _ZN9rocsparseL16sddmm_ell_kernelILi512ELi4EfllfffEEv20rocsparse_operation_S1_16rocsparse_order_S2_T3_S3_S3_T2_NS_24const_host_device_scalarIT1_EEPKT4_lPKT5_lS7_PT6_PKS3_21rocsparse_index_base_b.has_recursion, 0
	.set _ZN9rocsparseL16sddmm_ell_kernelILi512ELi4EfllfffEEv20rocsparse_operation_S1_16rocsparse_order_S2_T3_S3_S3_T2_NS_24const_host_device_scalarIT1_EEPKT4_lPKT5_lS7_PT6_PKS3_21rocsparse_index_base_b.has_indirect_call, 0
	.section	.AMDGPU.csdata,"",@progbits
; Kernel info:
; codeLenInByte = 1688
; TotalNumSgprs: 30
; NumVgprs: 16
; ScratchSize: 0
; MemoryBound: 0
; FloatMode: 240
; IeeeMode: 1
; LDSByteSize: 2048 bytes/workgroup (compile time only)
; SGPRBlocks: 0
; VGPRBlocks: 0
; NumSGPRsForWavesPerEU: 30
; NumVGPRsForWavesPerEU: 16
; NamedBarCnt: 0
; Occupancy: 16
; WaveLimiterHint : 0
; COMPUTE_PGM_RSRC2:SCRATCH_EN: 0
; COMPUTE_PGM_RSRC2:USER_SGPR: 2
; COMPUTE_PGM_RSRC2:TRAP_HANDLER: 0
; COMPUTE_PGM_RSRC2:TGID_X_EN: 1
; COMPUTE_PGM_RSRC2:TGID_Y_EN: 0
; COMPUTE_PGM_RSRC2:TGID_Z_EN: 0
; COMPUTE_PGM_RSRC2:TIDIG_COMP_CNT: 0
	.section	.text._ZN9rocsparseL16sddmm_ell_kernelILi512ELi2EfllfffEEv20rocsparse_operation_S1_16rocsparse_order_S2_T3_S3_S3_T2_NS_24const_host_device_scalarIT1_EEPKT4_lPKT5_lS7_PT6_PKS3_21rocsparse_index_base_b,"axG",@progbits,_ZN9rocsparseL16sddmm_ell_kernelILi512ELi2EfllfffEEv20rocsparse_operation_S1_16rocsparse_order_S2_T3_S3_S3_T2_NS_24const_host_device_scalarIT1_EEPKT4_lPKT5_lS7_PT6_PKS3_21rocsparse_index_base_b,comdat
	.globl	_ZN9rocsparseL16sddmm_ell_kernelILi512ELi2EfllfffEEv20rocsparse_operation_S1_16rocsparse_order_S2_T3_S3_S3_T2_NS_24const_host_device_scalarIT1_EEPKT4_lPKT5_lS7_PT6_PKS3_21rocsparse_index_base_b ; -- Begin function _ZN9rocsparseL16sddmm_ell_kernelILi512ELi2EfllfffEEv20rocsparse_operation_S1_16rocsparse_order_S2_T3_S3_S3_T2_NS_24const_host_device_scalarIT1_EEPKT4_lPKT5_lS7_PT6_PKS3_21rocsparse_index_base_b
	.p2align	8
	.type	_ZN9rocsparseL16sddmm_ell_kernelILi512ELi2EfllfffEEv20rocsparse_operation_S1_16rocsparse_order_S2_T3_S3_S3_T2_NS_24const_host_device_scalarIT1_EEPKT4_lPKT5_lS7_PT6_PKS3_21rocsparse_index_base_b,@function
_ZN9rocsparseL16sddmm_ell_kernelILi512ELi2EfllfffEEv20rocsparse_operation_S1_16rocsparse_order_S2_T3_S3_S3_T2_NS_24const_host_device_scalarIT1_EEPKT4_lPKT5_lS7_PT6_PKS3_21rocsparse_index_base_b: ; @_ZN9rocsparseL16sddmm_ell_kernelILi512ELi2EfllfffEEv20rocsparse_operation_S1_16rocsparse_order_S2_T3_S3_S3_T2_NS_24const_host_device_scalarIT1_EEPKT4_lPKT5_lS7_PT6_PKS3_21rocsparse_index_base_b
; %bb.0:
	s_clause 0x2
	s_load_b64 s[12:13], s[0:1], 0x70
	s_load_b64 s[16:17], s[0:1], 0x30
	s_load_b128 s[4:7], s[0:1], 0x50
	s_wait_kmcnt 0x0
	s_bitcmp1_b32 s13, 0
	s_cselect_b32 s2, -1, 0
	s_delay_alu instid0(SALU_CYCLE_1)
	s_and_b32 vcc_lo, exec_lo, s2
	s_xor_b32 s2, s2, -1
	s_cbranch_vccnz .LBB40_2
; %bb.1:
	s_load_b32 s16, s[16:17], 0x0
.LBB40_2:
	s_and_not1_b32 vcc_lo, exec_lo, s2
	s_cbranch_vccnz .LBB40_4
; %bb.3:
	s_load_b32 s6, s[6:7], 0x0
.LBB40_4:
	s_wait_kmcnt 0x0
	s_cmp_eq_f32 s16, 0
	s_cselect_b32 s2, -1, 0
	s_cmp_eq_f32 s6, 1.0
	s_cselect_b32 s3, -1, 0
	s_delay_alu instid0(SALU_CYCLE_1) | instskip(NEXT) | instid1(SALU_CYCLE_1)
	s_and_b32 s2, s2, s3
	s_and_b32 vcc_lo, exec_lo, s2
	s_cbranch_vccnz .LBB40_35
; %bb.5:
	s_load_b128 s[8:11], s[0:1], 0x20
	s_bfe_u32 s2, ttmp6, 0x4000c
	s_and_b32 s3, ttmp6, 15
	s_add_co_i32 s2, s2, 1
	s_getreg_b32 s7, hwreg(HW_REG_IB_STS2, 6, 4)
	s_mul_i32 s2, ttmp9, s2
	v_dual_mov_b32 v3, 0 :: v_dual_lshrrev_b32 v10, 1, v0
	s_add_co_i32 s3, s3, s2
	s_cmp_eq_u32 s7, 0
	s_cselect_b32 s2, ttmp9, s3
	s_delay_alu instid0(VALU_DEP_1) | instid1(SALU_CYCLE_1)
	v_lshl_or_b32 v2, s2, 8, v10
	s_mov_b32 s2, exec_lo
	s_wait_kmcnt 0x0
	s_delay_alu instid0(VALU_DEP_1)
	v_cmpx_gt_i64_e64 s[10:11], v[2:3]
	s_cbranch_execz .LBB40_35
; %bb.6:
	s_load_b64 s[10:11], s[0:1], 0x10
                                        ; implicit-def: $vgpr8_vgpr9
	s_wait_kmcnt 0x0
	s_and_b64 s[2:3], s[10:11], 0xffffffff00000000
	s_delay_alu instid0(SALU_CYCLE_1) | instskip(SKIP_1) | instid1(SALU_CYCLE_1)
	s_cmp_lg_u64 s[2:3], 0
	s_cselect_b32 s2, -1, 0
	s_and_saveexec_b32 s3, s2
	s_delay_alu instid0(SALU_CYCLE_1)
	s_xor_b32 s3, exec_lo, s3
	s_cbranch_execz .LBB40_8
; %bb.7:
	s_ashr_i32 s14, s11, 31
	s_mov_b32 s25, 0
	s_mov_b32 s15, s14
	v_add_nc_u64_e32 v[4:5], 0, v[2:3]
	s_add_nc_u64 s[18:19], s[10:11], s[14:15]
	v_mov_b32_e32 v7, 0
	s_xor_b64 s[14:15], s[18:19], s[14:15]
	s_delay_alu instid0(SALU_CYCLE_1) | instskip(SKIP_3) | instid1(SALU_CYCLE_1)
	s_cvt_f32_u32 s2, s14
	s_cvt_f32_u32 s7, s15
	s_sub_nc_u64 s[20:21], 0, s[14:15]
	v_mov_b32_e32 v6, v4
	s_fmamk_f32 s2, s7, 0x4f800000, s2
	s_delay_alu instid0(SALU_CYCLE_3) | instskip(NEXT) | instid1(TRANS32_DEP_1)
	v_s_rcp_f32 s2, s2
	s_mul_f32 s2, s2, 0x5f7ffffc
	s_delay_alu instid0(SALU_CYCLE_3) | instskip(NEXT) | instid1(SALU_CYCLE_3)
	s_mul_f32 s7, s2, 0x2f800000
	s_trunc_f32 s7, s7
	s_delay_alu instid0(SALU_CYCLE_3) | instskip(SKIP_1) | instid1(SALU_CYCLE_2)
	s_fmamk_f32 s2, s7, 0xcf800000, s2
	s_cvt_u32_f32 s19, s7
	s_cvt_u32_f32 s18, s2
	s_delay_alu instid0(SALU_CYCLE_3) | instskip(NEXT) | instid1(SALU_CYCLE_1)
	s_mul_u64 s[22:23], s[20:21], s[18:19]
	s_mul_hi_u32 s27, s18, s23
	s_mul_i32 s26, s18, s23
	s_mul_hi_u32 s24, s18, s22
	s_mul_i32 s7, s19, s22
	s_add_nc_u64 s[26:27], s[24:25], s[26:27]
	s_mul_hi_u32 s2, s19, s22
	s_mul_hi_u32 s11, s19, s23
	s_add_co_u32 s7, s26, s7
	s_add_co_ci_u32 s24, s27, s2
	s_mul_i32 s22, s19, s23
	s_add_co_ci_u32 s23, s11, 0
	s_delay_alu instid0(SALU_CYCLE_1) | instskip(NEXT) | instid1(SALU_CYCLE_1)
	s_add_nc_u64 s[22:23], s[24:25], s[22:23]
	s_add_co_u32 s18, s18, s22
	s_cselect_b32 s2, -1, 0
	s_delay_alu instid0(SALU_CYCLE_1) | instskip(SKIP_1) | instid1(SALU_CYCLE_1)
	s_cmp_lg_u32 s2, 0
	s_add_co_ci_u32 s19, s19, s23
	s_mul_u64 s[20:21], s[20:21], s[18:19]
	s_delay_alu instid0(SALU_CYCLE_1)
	s_mul_hi_u32 s23, s18, s21
	s_mul_i32 s22, s18, s21
	s_mul_hi_u32 s24, s18, s20
	s_mul_i32 s7, s19, s20
	s_add_nc_u64 s[22:23], s[24:25], s[22:23]
	s_mul_hi_u32 s2, s19, s20
	s_mul_hi_u32 s11, s19, s21
	s_add_co_u32 s7, s22, s7
	s_add_co_ci_u32 s24, s23, s2
	s_mul_i32 s20, s19, s21
	s_add_co_ci_u32 s21, s11, 0
	s_delay_alu instid0(SALU_CYCLE_1) | instskip(NEXT) | instid1(SALU_CYCLE_1)
	s_add_nc_u64 s[20:21], s[24:25], s[20:21]
	s_add_co_u32 s2, s18, s20
	s_cselect_b32 s7, -1, 0
	s_delay_alu instid0(SALU_CYCLE_1)
	s_cmp_lg_u32 s7, 0
	s_add_co_ci_u32 s24, s19, s21
	s_mov_b64 s[18:19], 0xffffffff
	v_mul_u64_e32 v[8:9], s[24:25], v[6:7]
	v_mul_hi_u32 v6, v4, s2
	s_and_b64 s[18:19], s[2:3], s[18:19]
	s_delay_alu instid0(VALU_DEP_1) | instskip(SKIP_1) | instid1(VALU_DEP_1)
	v_add_nc_u64_e32 v[8:9], v[6:7], v[8:9]
	v_mov_b32_e32 v6, v5
	v_mul_u64_e32 v[12:13], s[18:19], v[6:7]
	v_mul_u64_e32 v[14:15], s[24:25], v[6:7]
	s_delay_alu instid0(VALU_DEP_2) | instskip(NEXT) | instid1(VALU_DEP_3)
	v_add_co_u32 v1, vcc_lo, v8, v12
	v_add_co_ci_u32_e32 v6, vcc_lo, v9, v13, vcc_lo
	s_delay_alu instid0(VALU_DEP_3) | instskip(NEXT) | instid1(VALU_DEP_1)
	v_add_co_ci_u32_e32 v15, vcc_lo, 0, v15, vcc_lo
	v_add_nc_u64_e32 v[6:7], v[6:7], v[14:15]
	s_delay_alu instid0(VALU_DEP_1) | instskip(NEXT) | instid1(VALU_DEP_1)
	v_mul_u64_e32 v[6:7], s[14:15], v[6:7]
	v_sub_nc_u32_e32 v1, v5, v7
	s_delay_alu instid0(VALU_DEP_2) | instskip(NEXT) | instid1(VALU_DEP_1)
	v_sub_co_u32 v4, vcc_lo, v4, v6
	v_sub_co_ci_u32_e64 v5, null, v5, v7, vcc_lo
	s_delay_alu instid0(VALU_DEP_3) | instskip(NEXT) | instid1(VALU_DEP_3)
	v_subrev_co_ci_u32_e64 v1, null, s15, v1, vcc_lo
	v_sub_co_u32 v6, vcc_lo, v4, s14
	v_cmp_le_u32_e64 s2, s14, v4
	s_delay_alu instid0(VALU_DEP_3) | instskip(SKIP_1) | instid1(VALU_DEP_3)
	v_subrev_co_ci_u32_e64 v7, null, 0, v1, vcc_lo
	v_subrev_co_ci_u32_e64 v1, null, s15, v1, vcc_lo
	v_cndmask_b32_e64 v8, 0, -1, s2
	v_cmp_le_u32_e64 s2, s14, v6
	v_cmp_le_u32_e32 vcc_lo, s15, v5
	s_delay_alu instid0(VALU_DEP_2) | instskip(SKIP_3) | instid1(VALU_DEP_3)
	v_cndmask_b32_e64 v9, 0, -1, s2
	v_cmp_le_u32_e64 s2, s15, v7
	v_cndmask_b32_e64 v12, 0, -1, vcc_lo
	v_cmp_eq_u32_e32 vcc_lo, s15, v7
	v_cndmask_b32_e64 v11, 0, -1, s2
	v_cmp_eq_u32_e64 s2, s15, v5
	s_delay_alu instid0(VALU_DEP_1) | instskip(SKIP_1) | instid1(VALU_DEP_1)
	v_dual_cndmask_b32 v9, v11, v9, vcc_lo :: v_dual_cndmask_b32 v8, v12, v8, s2
	v_sub_co_u32 v11, vcc_lo, v6, s14
	v_subrev_co_ci_u32_e64 v1, null, 0, v1, vcc_lo
	s_delay_alu instid0(VALU_DEP_3) | instskip(NEXT) | instid1(VALU_DEP_2)
	v_cmp_ne_u32_e32 vcc_lo, 0, v9
	v_dual_cndmask_b32 v1, v7, v1 :: v_dual_cndmask_b32 v6, v6, v11
	v_cmp_ne_u32_e32 vcc_lo, 0, v8
	s_delay_alu instid0(VALU_DEP_2) | instskip(NEXT) | instid1(VALU_DEP_1)
	v_dual_cndmask_b32 v5, v5, v1 :: v_dual_cndmask_b32 v4, v4, v6
	v_sub_nc_u64_e64 v[8:9], v[4:5], 0
.LBB40_8:
	s_or_saveexec_b32 s7, s3
	s_load_b64 s[2:3], s[0:1], 0x68
	s_xor_b32 exec_lo, exec_lo, s7
	s_cbranch_execz .LBB40_10
; %bb.9:
	v_cvt_f32_u32_e32 v1, s10
	s_sub_co_i32 s11, 0, s10
	v_mov_b32_e32 v9, 0
	s_delay_alu instid0(VALU_DEP_2) | instskip(SKIP_1) | instid1(TRANS32_DEP_1)
	v_rcp_iflag_f32_e32 v1, v1
	v_nop
	v_mul_f32_e32 v1, 0x4f7ffffe, v1
	s_delay_alu instid0(VALU_DEP_1) | instskip(NEXT) | instid1(VALU_DEP_1)
	v_cvt_u32_f32_e32 v1, v1
	v_mul_lo_u32 v4, s11, v1
	s_delay_alu instid0(VALU_DEP_1) | instskip(NEXT) | instid1(VALU_DEP_1)
	v_mul_hi_u32 v4, v1, v4
	v_add_nc_u32_e32 v1, v1, v4
	s_delay_alu instid0(VALU_DEP_1) | instskip(NEXT) | instid1(VALU_DEP_1)
	v_mul_hi_u32 v1, v2, v1
	v_mul_lo_u32 v1, v1, s10
	s_delay_alu instid0(VALU_DEP_1) | instskip(NEXT) | instid1(VALU_DEP_1)
	v_sub_nc_u32_e32 v1, v2, v1
	v_subrev_nc_u32_e32 v4, s10, v1
	v_cmp_le_u32_e32 vcc_lo, s10, v1
	s_delay_alu instid0(VALU_DEP_2) | instskip(NEXT) | instid1(VALU_DEP_1)
	v_cndmask_b32_e32 v1, v1, v4, vcc_lo
	v_subrev_nc_u32_e32 v4, s10, v1
	v_cmp_le_u32_e32 vcc_lo, s10, v1
	s_delay_alu instid0(VALU_DEP_2)
	v_cndmask_b32_e32 v8, v1, v4, vcc_lo
.LBB40_10:
	s_or_b32 exec_lo, exec_lo, s7
	s_wait_kmcnt 0x0
	v_lshl_add_u64 v[4:5], v[2:3], 3, s[2:3]
	s_mov_b32 s13, 0
	global_load_b64 v[4:5], v[4:5], off
	s_wait_loadcnt 0x0
	v_sub_nc_u64_e64 v[6:7], v[4:5], s[12:13]
	s_delay_alu instid0(VALU_DEP_1)
	v_cmp_lt_i64_e32 vcc_lo, -1, v[6:7]
	s_and_b32 exec_lo, exec_lo, vcc_lo
	s_cbranch_execz .LBB40_35
; %bb.11:
	s_clause 0x1
	s_load_b128 s[12:15], s[0:1], 0x0
	s_load_b64 s[2:3], s[0:1], 0x40
	s_wait_kmcnt 0x0
	s_cmp_eq_u32 s14, 1
	s_cselect_b32 s7, -1, 0
	s_cmp_eq_u32 s12, 0x6f
	s_cselect_b32 s10, -1, 0
	s_cmp_lg_u32 s12, 0x6f
	s_cselect_b32 s11, -1, 0
	s_cmp_lg_u32 s14, 1
	s_cbranch_scc0 .LBB40_15
; %bb.12:
	v_mov_b64_e32 v[4:5], v[8:9]
	s_and_not1_b32 vcc_lo, exec_lo, s10
	s_cbranch_vccnz .LBB40_14
; %bb.13:
	v_mul_u64_e32 v[4:5], s[2:3], v[8:9]
.LBB40_14:
	s_cbranch_execz .LBB40_16
	s_branch .LBB40_19
.LBB40_15:
                                        ; implicit-def: $vgpr4_vgpr5
.LBB40_16:
	s_and_not1_b32 vcc_lo, exec_lo, s11
	s_cbranch_vccnz .LBB40_18
; %bb.17:
	v_mul_u64_e32 v[8:9], s[2:3], v[8:9]
.LBB40_18:
	s_delay_alu instid0(VALU_DEP_1)
	v_mov_b64_e32 v[4:5], v[8:9]
.LBB40_19:
	s_cmp_eq_u32 s15, 1
	s_cselect_b32 s12, -1, 0
	s_cmp_eq_u32 s13, 0x6f
	s_cselect_b32 s14, -1, 0
	s_cmp_lg_u32 s13, 0x6f
	s_cselect_b32 s11, -1, 0
	s_cmp_lg_u32 s15, 1
	s_cbranch_scc0 .LBB40_23
; %bb.20:
	v_mov_b64_e32 v[8:9], v[6:7]
	s_and_not1_b32 vcc_lo, exec_lo, s11
	s_cbranch_vccnz .LBB40_22
; %bb.21:
	v_mul_u64_e32 v[8:9], s[4:5], v[6:7]
.LBB40_22:
	s_cbranch_execz .LBB40_24
	s_branch .LBB40_27
.LBB40_23:
                                        ; implicit-def: $vgpr8_vgpr9
.LBB40_24:
	s_and_not1_b32 vcc_lo, exec_lo, s14
	s_cbranch_vccnz .LBB40_26
; %bb.25:
	v_mul_u64_e32 v[6:7], s[4:5], v[6:7]
.LBB40_26:
	s_delay_alu instid0(VALU_DEP_1)
	v_mov_b64_e32 v[8:9], v[6:7]
.LBB40_27:
	v_dual_mov_b32 v1, 0 :: v_dual_bitop2_b32 v0, 1, v0 bitop3:0x40
	s_mov_b32 s11, exec_lo
	s_delay_alu instid0(VALU_DEP_1)
	v_cmpx_gt_i64_e64 s[8:9], v[0:1]
	s_cbranch_execz .LBB40_31
; %bb.28:
	s_xor_b32 s7, s10, s7
	s_delay_alu instid0(VALU_DEP_3)
	v_lshlrev_b64_e32 v[8:9], 2, v[8:9]
	s_and_b32 s7, s7, exec_lo
	s_cselect_b32 s19, 0, s3
	s_cselect_b32 s18, 1, s2
	s_xor_b32 s2, s14, s12
	v_mul_u64_e32 v[12:13], s[18:19], v[0:1]
	s_and_b32 s2, s2, exec_lo
	s_cselect_b32 s3, s5, 0
	s_cselect_b32 s2, s4, 1
	s_clause 0x1
	s_load_b64 s[4:5], s[0:1], 0x48
	s_load_b64 s[12:13], s[0:1], 0x38
	v_mul_u64_e32 v[6:7], s[2:3], v[0:1]
	v_lshlrev_b64_e32 v[4:5], 2, v[4:5]
	v_mov_b32_e32 v11, 0
	s_mov_b32 s7, 0
	s_lshl_b64 s[2:3], s[2:3], 3
	s_delay_alu instid0(VALU_DEP_3) | instskip(NEXT) | instid1(VALU_DEP_3)
	v_lshl_add_u64 v[6:7], v[6:7], 2, v[8:9]
	v_lshl_add_u64 v[8:9], v[12:13], 2, v[4:5]
	s_wait_kmcnt 0x0
	s_delay_alu instid0(VALU_DEP_2) | instskip(NEXT) | instid1(VALU_DEP_2)
	v_add_nc_u64_e32 v[4:5], s[4:5], v[6:7]
	v_add_nc_u64_e32 v[6:7], s[12:13], v[8:9]
	v_mov_b64_e32 v[8:9], v[0:1]
	v_mov_b32_e32 v1, v11
	s_lshl_b64 s[4:5], s[18:19], 3
.LBB40_29:                              ; =>This Inner Loop Header: Depth=1
	global_load_b32 v11, v[6:7], off
	global_load_b32 v12, v[4:5], off
	v_add_nc_u64_e32 v[8:9], 2, v[8:9]
	s_wait_xcnt 0x0
	v_add_nc_u64_e32 v[4:5], s[2:3], v[4:5]
	v_add_nc_u64_e32 v[6:7], s[4:5], v[6:7]
	s_delay_alu instid0(VALU_DEP_3)
	v_cmp_le_i64_e32 vcc_lo, s[8:9], v[8:9]
	s_or_b32 s7, vcc_lo, s7
	s_wait_loadcnt 0x0
	v_fmac_f32_e32 v1, v11, v12
	s_and_not1_b32 exec_lo, exec_lo, s7
	s_cbranch_execnz .LBB40_29
; %bb.30:
	s_or_b32 exec_lo, exec_lo, s7
.LBB40_31:
	s_delay_alu instid0(SALU_CYCLE_1) | instskip(SKIP_3) | instid1(VALU_DEP_2)
	s_or_b32 exec_lo, exec_lo, s11
	s_load_b64 s[0:1], s[0:1], 0x60
	v_lshlrev_b32_e32 v4, 3, v10
	v_cmp_eq_u32_e32 vcc_lo, 0, v0
	v_lshl_or_b32 v5, v0, 2, v4
	ds_store_b32 v5, v1
	s_wait_dscnt 0x0
	s_barrier_signal -1
	s_barrier_wait -1
	s_and_saveexec_b32 s2, vcc_lo
	s_cbranch_execz .LBB40_33
; %bb.32:
	ds_load_b32 v0, v4 offset:4
	ds_load_b32 v1, v5
	s_wait_dscnt 0x0
	v_add_f32_e32 v0, v0, v1
	ds_store_b32 v5, v0
.LBB40_33:
	s_or_b32 exec_lo, exec_lo, s2
	s_wait_dscnt 0x0
	s_barrier_signal -1
	s_barrier_wait -1
	s_and_b32 exec_lo, exec_lo, vcc_lo
	s_cbranch_execz .LBB40_35
; %bb.34:
	s_wait_kmcnt 0x0
	v_lshl_add_u64 v[0:1], v[2:3], 2, s[0:1]
	ds_load_b32 v3, v4
	v_dual_mov_b32 v4, s6 :: v_dual_mov_b32 v5, s16
	global_load_b32 v2, v[0:1], off
	s_wait_loadcnt_dscnt 0x0
	v_pk_mul_f32 v[2:3], v[4:5], v[2:3]
	s_delay_alu instid0(VALU_DEP_1)
	v_add_f32_e32 v2, v2, v3
	global_store_b32 v[0:1], v2, off
.LBB40_35:
	s_endpgm
	.section	.rodata,"a",@progbits
	.p2align	6, 0x0
	.amdhsa_kernel _ZN9rocsparseL16sddmm_ell_kernelILi512ELi2EfllfffEEv20rocsparse_operation_S1_16rocsparse_order_S2_T3_S3_S3_T2_NS_24const_host_device_scalarIT1_EEPKT4_lPKT5_lS7_PT6_PKS3_21rocsparse_index_base_b
		.amdhsa_group_segment_fixed_size 2048
		.amdhsa_private_segment_fixed_size 0
		.amdhsa_kernarg_size 120
		.amdhsa_user_sgpr_count 2
		.amdhsa_user_sgpr_dispatch_ptr 0
		.amdhsa_user_sgpr_queue_ptr 0
		.amdhsa_user_sgpr_kernarg_segment_ptr 1
		.amdhsa_user_sgpr_dispatch_id 0
		.amdhsa_user_sgpr_kernarg_preload_length 0
		.amdhsa_user_sgpr_kernarg_preload_offset 0
		.amdhsa_user_sgpr_private_segment_size 0
		.amdhsa_wavefront_size32 1
		.amdhsa_uses_dynamic_stack 0
		.amdhsa_enable_private_segment 0
		.amdhsa_system_sgpr_workgroup_id_x 1
		.amdhsa_system_sgpr_workgroup_id_y 0
		.amdhsa_system_sgpr_workgroup_id_z 0
		.amdhsa_system_sgpr_workgroup_info 0
		.amdhsa_system_vgpr_workitem_id 0
		.amdhsa_next_free_vgpr 16
		.amdhsa_next_free_sgpr 28
		.amdhsa_named_barrier_count 0
		.amdhsa_reserve_vcc 1
		.amdhsa_float_round_mode_32 0
		.amdhsa_float_round_mode_16_64 0
		.amdhsa_float_denorm_mode_32 3
		.amdhsa_float_denorm_mode_16_64 3
		.amdhsa_fp16_overflow 0
		.amdhsa_memory_ordered 1
		.amdhsa_forward_progress 1
		.amdhsa_inst_pref_size 13
		.amdhsa_round_robin_scheduling 0
		.amdhsa_exception_fp_ieee_invalid_op 0
		.amdhsa_exception_fp_denorm_src 0
		.amdhsa_exception_fp_ieee_div_zero 0
		.amdhsa_exception_fp_ieee_overflow 0
		.amdhsa_exception_fp_ieee_underflow 0
		.amdhsa_exception_fp_ieee_inexact 0
		.amdhsa_exception_int_div_zero 0
	.end_amdhsa_kernel
	.section	.text._ZN9rocsparseL16sddmm_ell_kernelILi512ELi2EfllfffEEv20rocsparse_operation_S1_16rocsparse_order_S2_T3_S3_S3_T2_NS_24const_host_device_scalarIT1_EEPKT4_lPKT5_lS7_PT6_PKS3_21rocsparse_index_base_b,"axG",@progbits,_ZN9rocsparseL16sddmm_ell_kernelILi512ELi2EfllfffEEv20rocsparse_operation_S1_16rocsparse_order_S2_T3_S3_S3_T2_NS_24const_host_device_scalarIT1_EEPKT4_lPKT5_lS7_PT6_PKS3_21rocsparse_index_base_b,comdat
.Lfunc_end40:
	.size	_ZN9rocsparseL16sddmm_ell_kernelILi512ELi2EfllfffEEv20rocsparse_operation_S1_16rocsparse_order_S2_T3_S3_S3_T2_NS_24const_host_device_scalarIT1_EEPKT4_lPKT5_lS7_PT6_PKS3_21rocsparse_index_base_b, .Lfunc_end40-_ZN9rocsparseL16sddmm_ell_kernelILi512ELi2EfllfffEEv20rocsparse_operation_S1_16rocsparse_order_S2_T3_S3_S3_T2_NS_24const_host_device_scalarIT1_EEPKT4_lPKT5_lS7_PT6_PKS3_21rocsparse_index_base_b
                                        ; -- End function
	.set _ZN9rocsparseL16sddmm_ell_kernelILi512ELi2EfllfffEEv20rocsparse_operation_S1_16rocsparse_order_S2_T3_S3_S3_T2_NS_24const_host_device_scalarIT1_EEPKT4_lPKT5_lS7_PT6_PKS3_21rocsparse_index_base_b.num_vgpr, 16
	.set _ZN9rocsparseL16sddmm_ell_kernelILi512ELi2EfllfffEEv20rocsparse_operation_S1_16rocsparse_order_S2_T3_S3_S3_T2_NS_24const_host_device_scalarIT1_EEPKT4_lPKT5_lS7_PT6_PKS3_21rocsparse_index_base_b.num_agpr, 0
	.set _ZN9rocsparseL16sddmm_ell_kernelILi512ELi2EfllfffEEv20rocsparse_operation_S1_16rocsparse_order_S2_T3_S3_S3_T2_NS_24const_host_device_scalarIT1_EEPKT4_lPKT5_lS7_PT6_PKS3_21rocsparse_index_base_b.numbered_sgpr, 28
	.set _ZN9rocsparseL16sddmm_ell_kernelILi512ELi2EfllfffEEv20rocsparse_operation_S1_16rocsparse_order_S2_T3_S3_S3_T2_NS_24const_host_device_scalarIT1_EEPKT4_lPKT5_lS7_PT6_PKS3_21rocsparse_index_base_b.num_named_barrier, 0
	.set _ZN9rocsparseL16sddmm_ell_kernelILi512ELi2EfllfffEEv20rocsparse_operation_S1_16rocsparse_order_S2_T3_S3_S3_T2_NS_24const_host_device_scalarIT1_EEPKT4_lPKT5_lS7_PT6_PKS3_21rocsparse_index_base_b.private_seg_size, 0
	.set _ZN9rocsparseL16sddmm_ell_kernelILi512ELi2EfllfffEEv20rocsparse_operation_S1_16rocsparse_order_S2_T3_S3_S3_T2_NS_24const_host_device_scalarIT1_EEPKT4_lPKT5_lS7_PT6_PKS3_21rocsparse_index_base_b.uses_vcc, 1
	.set _ZN9rocsparseL16sddmm_ell_kernelILi512ELi2EfllfffEEv20rocsparse_operation_S1_16rocsparse_order_S2_T3_S3_S3_T2_NS_24const_host_device_scalarIT1_EEPKT4_lPKT5_lS7_PT6_PKS3_21rocsparse_index_base_b.uses_flat_scratch, 0
	.set _ZN9rocsparseL16sddmm_ell_kernelILi512ELi2EfllfffEEv20rocsparse_operation_S1_16rocsparse_order_S2_T3_S3_S3_T2_NS_24const_host_device_scalarIT1_EEPKT4_lPKT5_lS7_PT6_PKS3_21rocsparse_index_base_b.has_dyn_sized_stack, 0
	.set _ZN9rocsparseL16sddmm_ell_kernelILi512ELi2EfllfffEEv20rocsparse_operation_S1_16rocsparse_order_S2_T3_S3_S3_T2_NS_24const_host_device_scalarIT1_EEPKT4_lPKT5_lS7_PT6_PKS3_21rocsparse_index_base_b.has_recursion, 0
	.set _ZN9rocsparseL16sddmm_ell_kernelILi512ELi2EfllfffEEv20rocsparse_operation_S1_16rocsparse_order_S2_T3_S3_S3_T2_NS_24const_host_device_scalarIT1_EEPKT4_lPKT5_lS7_PT6_PKS3_21rocsparse_index_base_b.has_indirect_call, 0
	.section	.AMDGPU.csdata,"",@progbits
; Kernel info:
; codeLenInByte = 1644
; TotalNumSgprs: 30
; NumVgprs: 16
; ScratchSize: 0
; MemoryBound: 0
; FloatMode: 240
; IeeeMode: 1
; LDSByteSize: 2048 bytes/workgroup (compile time only)
; SGPRBlocks: 0
; VGPRBlocks: 0
; NumSGPRsForWavesPerEU: 30
; NumVGPRsForWavesPerEU: 16
; NamedBarCnt: 0
; Occupancy: 16
; WaveLimiterHint : 0
; COMPUTE_PGM_RSRC2:SCRATCH_EN: 0
; COMPUTE_PGM_RSRC2:USER_SGPR: 2
; COMPUTE_PGM_RSRC2:TRAP_HANDLER: 0
; COMPUTE_PGM_RSRC2:TGID_X_EN: 1
; COMPUTE_PGM_RSRC2:TGID_Y_EN: 0
; COMPUTE_PGM_RSRC2:TGID_Z_EN: 0
; COMPUTE_PGM_RSRC2:TIDIG_COMP_CNT: 0
	.section	.text._ZN9rocsparseL16sddmm_ell_kernelILi512ELi1EfllfffEEv20rocsparse_operation_S1_16rocsparse_order_S2_T3_S3_S3_T2_NS_24const_host_device_scalarIT1_EEPKT4_lPKT5_lS7_PT6_PKS3_21rocsparse_index_base_b,"axG",@progbits,_ZN9rocsparseL16sddmm_ell_kernelILi512ELi1EfllfffEEv20rocsparse_operation_S1_16rocsparse_order_S2_T3_S3_S3_T2_NS_24const_host_device_scalarIT1_EEPKT4_lPKT5_lS7_PT6_PKS3_21rocsparse_index_base_b,comdat
	.globl	_ZN9rocsparseL16sddmm_ell_kernelILi512ELi1EfllfffEEv20rocsparse_operation_S1_16rocsparse_order_S2_T3_S3_S3_T2_NS_24const_host_device_scalarIT1_EEPKT4_lPKT5_lS7_PT6_PKS3_21rocsparse_index_base_b ; -- Begin function _ZN9rocsparseL16sddmm_ell_kernelILi512ELi1EfllfffEEv20rocsparse_operation_S1_16rocsparse_order_S2_T3_S3_S3_T2_NS_24const_host_device_scalarIT1_EEPKT4_lPKT5_lS7_PT6_PKS3_21rocsparse_index_base_b
	.p2align	8
	.type	_ZN9rocsparseL16sddmm_ell_kernelILi512ELi1EfllfffEEv20rocsparse_operation_S1_16rocsparse_order_S2_T3_S3_S3_T2_NS_24const_host_device_scalarIT1_EEPKT4_lPKT5_lS7_PT6_PKS3_21rocsparse_index_base_b,@function
_ZN9rocsparseL16sddmm_ell_kernelILi512ELi1EfllfffEEv20rocsparse_operation_S1_16rocsparse_order_S2_T3_S3_S3_T2_NS_24const_host_device_scalarIT1_EEPKT4_lPKT5_lS7_PT6_PKS3_21rocsparse_index_base_b: ; @_ZN9rocsparseL16sddmm_ell_kernelILi512ELi1EfllfffEEv20rocsparse_operation_S1_16rocsparse_order_S2_T3_S3_S3_T2_NS_24const_host_device_scalarIT1_EEPKT4_lPKT5_lS7_PT6_PKS3_21rocsparse_index_base_b
; %bb.0:
	s_clause 0x2
	s_load_b64 s[12:13], s[0:1], 0x70
	s_load_b64 s[16:17], s[0:1], 0x30
	s_load_b128 s[4:7], s[0:1], 0x50
	s_wait_kmcnt 0x0
	s_bitcmp1_b32 s13, 0
	s_cselect_b32 s2, -1, 0
	s_delay_alu instid0(SALU_CYCLE_1)
	s_and_b32 vcc_lo, exec_lo, s2
	s_xor_b32 s2, s2, -1
	s_cbranch_vccnz .LBB41_2
; %bb.1:
	s_load_b32 s16, s[16:17], 0x0
.LBB41_2:
	s_and_not1_b32 vcc_lo, exec_lo, s2
	s_cbranch_vccnz .LBB41_4
; %bb.3:
	s_load_b32 s6, s[6:7], 0x0
.LBB41_4:
	s_wait_kmcnt 0x0
	s_cmp_eq_f32 s16, 0
	s_cselect_b32 s2, -1, 0
	s_cmp_eq_f32 s6, 1.0
	s_cselect_b32 s3, -1, 0
	s_delay_alu instid0(SALU_CYCLE_1) | instskip(NEXT) | instid1(SALU_CYCLE_1)
	s_and_b32 s2, s2, s3
	s_and_b32 vcc_lo, exec_lo, s2
	s_cbranch_vccnz .LBB41_32
; %bb.5:
	s_load_b128 s[8:11], s[0:1], 0x20
	s_bfe_u32 s2, ttmp6, 0x4000c
	s_and_b32 s3, ttmp6, 15
	s_add_co_i32 s2, s2, 1
	s_getreg_b32 s7, hwreg(HW_REG_IB_STS2, 6, 4)
	s_mul_i32 s2, ttmp9, s2
	v_mov_b32_e32 v3, 0
	s_add_co_i32 s3, s3, s2
	s_cmp_eq_u32 s7, 0
	s_cselect_b32 s2, ttmp9, s3
	s_delay_alu instid0(SALU_CYCLE_1) | instskip(SKIP_2) | instid1(VALU_DEP_1)
	v_lshl_or_b32 v2, s2, 9, v0
	s_mov_b32 s2, exec_lo
	s_wait_kmcnt 0x0
	v_cmpx_gt_i64_e64 s[10:11], v[2:3]
	s_cbranch_execz .LBB41_32
; %bb.6:
	s_load_b64 s[10:11], s[0:1], 0x10
                                        ; implicit-def: $vgpr8_vgpr9
	s_wait_kmcnt 0x0
	s_and_b64 s[2:3], s[10:11], 0xffffffff00000000
	s_delay_alu instid0(SALU_CYCLE_1) | instskip(SKIP_1) | instid1(SALU_CYCLE_1)
	s_cmp_lg_u64 s[2:3], 0
	s_cselect_b32 s2, -1, 0
	s_and_saveexec_b32 s3, s2
	s_delay_alu instid0(SALU_CYCLE_1)
	s_xor_b32 s3, exec_lo, s3
	s_cbranch_execz .LBB41_8
; %bb.7:
	s_ashr_i32 s14, s11, 31
	s_mov_b32 s25, 0
	s_mov_b32 s15, s14
	v_add_nc_u64_e32 v[4:5], 0, v[2:3]
	s_add_nc_u64 s[18:19], s[10:11], s[14:15]
	v_mov_b32_e32 v7, 0
	s_xor_b64 s[14:15], s[18:19], s[14:15]
	s_delay_alu instid0(SALU_CYCLE_1) | instskip(SKIP_3) | instid1(SALU_CYCLE_1)
	s_cvt_f32_u32 s2, s14
	s_cvt_f32_u32 s7, s15
	s_sub_nc_u64 s[20:21], 0, s[14:15]
	v_mov_b32_e32 v6, v4
	s_fmamk_f32 s2, s7, 0x4f800000, s2
	s_delay_alu instid0(SALU_CYCLE_3) | instskip(NEXT) | instid1(TRANS32_DEP_1)
	v_s_rcp_f32 s2, s2
	s_mul_f32 s2, s2, 0x5f7ffffc
	s_delay_alu instid0(SALU_CYCLE_3) | instskip(NEXT) | instid1(SALU_CYCLE_3)
	s_mul_f32 s7, s2, 0x2f800000
	s_trunc_f32 s7, s7
	s_delay_alu instid0(SALU_CYCLE_3) | instskip(SKIP_1) | instid1(SALU_CYCLE_2)
	s_fmamk_f32 s2, s7, 0xcf800000, s2
	s_cvt_u32_f32 s19, s7
	s_cvt_u32_f32 s18, s2
	s_delay_alu instid0(SALU_CYCLE_3) | instskip(NEXT) | instid1(SALU_CYCLE_1)
	s_mul_u64 s[22:23], s[20:21], s[18:19]
	s_mul_hi_u32 s27, s18, s23
	s_mul_i32 s26, s18, s23
	s_mul_hi_u32 s24, s18, s22
	s_mul_i32 s7, s19, s22
	s_add_nc_u64 s[26:27], s[24:25], s[26:27]
	s_mul_hi_u32 s2, s19, s22
	s_mul_hi_u32 s11, s19, s23
	s_add_co_u32 s7, s26, s7
	s_add_co_ci_u32 s24, s27, s2
	s_mul_i32 s22, s19, s23
	s_add_co_ci_u32 s23, s11, 0
	s_delay_alu instid0(SALU_CYCLE_1) | instskip(NEXT) | instid1(SALU_CYCLE_1)
	s_add_nc_u64 s[22:23], s[24:25], s[22:23]
	s_add_co_u32 s18, s18, s22
	s_cselect_b32 s2, -1, 0
	s_delay_alu instid0(SALU_CYCLE_1) | instskip(SKIP_1) | instid1(SALU_CYCLE_1)
	s_cmp_lg_u32 s2, 0
	s_add_co_ci_u32 s19, s19, s23
	s_mul_u64 s[20:21], s[20:21], s[18:19]
	s_delay_alu instid0(SALU_CYCLE_1)
	s_mul_hi_u32 s23, s18, s21
	s_mul_i32 s22, s18, s21
	s_mul_hi_u32 s24, s18, s20
	s_mul_i32 s7, s19, s20
	s_add_nc_u64 s[22:23], s[24:25], s[22:23]
	s_mul_hi_u32 s2, s19, s20
	s_mul_hi_u32 s11, s19, s21
	s_add_co_u32 s7, s22, s7
	s_add_co_ci_u32 s24, s23, s2
	s_mul_i32 s20, s19, s21
	s_add_co_ci_u32 s21, s11, 0
	s_delay_alu instid0(SALU_CYCLE_1) | instskip(NEXT) | instid1(SALU_CYCLE_1)
	s_add_nc_u64 s[20:21], s[24:25], s[20:21]
	s_add_co_u32 s2, s18, s20
	s_cselect_b32 s7, -1, 0
	s_delay_alu instid0(SALU_CYCLE_1)
	s_cmp_lg_u32 s7, 0
	s_add_co_ci_u32 s24, s19, s21
	s_mov_b64 s[18:19], 0xffffffff
	v_mul_u64_e32 v[8:9], s[24:25], v[6:7]
	v_mul_hi_u32 v6, v4, s2
	s_and_b64 s[18:19], s[2:3], s[18:19]
	s_delay_alu instid0(VALU_DEP_1) | instskip(SKIP_1) | instid1(VALU_DEP_1)
	v_add_nc_u64_e32 v[8:9], v[6:7], v[8:9]
	v_mov_b32_e32 v6, v5
	v_mul_u64_e32 v[10:11], s[18:19], v[6:7]
	v_mul_u64_e32 v[12:13], s[24:25], v[6:7]
	s_delay_alu instid0(VALU_DEP_2) | instskip(NEXT) | instid1(VALU_DEP_3)
	v_add_co_u32 v1, vcc_lo, v8, v10
	v_add_co_ci_u32_e32 v6, vcc_lo, v9, v11, vcc_lo
	s_delay_alu instid0(VALU_DEP_3) | instskip(NEXT) | instid1(VALU_DEP_1)
	v_add_co_ci_u32_e32 v13, vcc_lo, 0, v13, vcc_lo
	v_add_nc_u64_e32 v[6:7], v[6:7], v[12:13]
	s_delay_alu instid0(VALU_DEP_1) | instskip(NEXT) | instid1(VALU_DEP_1)
	v_mul_u64_e32 v[6:7], s[14:15], v[6:7]
	v_sub_nc_u32_e32 v1, v5, v7
	s_delay_alu instid0(VALU_DEP_2) | instskip(NEXT) | instid1(VALU_DEP_1)
	v_sub_co_u32 v4, vcc_lo, v4, v6
	v_sub_co_ci_u32_e64 v5, null, v5, v7, vcc_lo
	s_delay_alu instid0(VALU_DEP_3) | instskip(NEXT) | instid1(VALU_DEP_3)
	v_subrev_co_ci_u32_e64 v1, null, s15, v1, vcc_lo
	v_sub_co_u32 v6, vcc_lo, v4, s14
	v_cmp_le_u32_e64 s2, s14, v4
	s_delay_alu instid0(VALU_DEP_3) | instskip(SKIP_1) | instid1(VALU_DEP_3)
	v_subrev_co_ci_u32_e64 v7, null, 0, v1, vcc_lo
	v_subrev_co_ci_u32_e64 v1, null, s15, v1, vcc_lo
	v_cndmask_b32_e64 v8, 0, -1, s2
	v_cmp_le_u32_e64 s2, s14, v6
	v_cmp_le_u32_e32 vcc_lo, s15, v5
	s_delay_alu instid0(VALU_DEP_2) | instskip(SKIP_3) | instid1(VALU_DEP_3)
	v_cndmask_b32_e64 v9, 0, -1, s2
	v_cmp_le_u32_e64 s2, s15, v7
	v_cndmask_b32_e64 v11, 0, -1, vcc_lo
	v_cmp_eq_u32_e32 vcc_lo, s15, v7
	v_cndmask_b32_e64 v10, 0, -1, s2
	v_cmp_eq_u32_e64 s2, s15, v5
	s_delay_alu instid0(VALU_DEP_1) | instskip(SKIP_1) | instid1(VALU_DEP_1)
	v_dual_cndmask_b32 v9, v10, v9, vcc_lo :: v_dual_cndmask_b32 v8, v11, v8, s2
	v_sub_co_u32 v10, vcc_lo, v6, s14
	v_subrev_co_ci_u32_e64 v1, null, 0, v1, vcc_lo
	s_delay_alu instid0(VALU_DEP_3) | instskip(NEXT) | instid1(VALU_DEP_2)
	v_cmp_ne_u32_e32 vcc_lo, 0, v9
	v_dual_cndmask_b32 v1, v7, v1 :: v_dual_cndmask_b32 v6, v6, v10
	v_cmp_ne_u32_e32 vcc_lo, 0, v8
	s_delay_alu instid0(VALU_DEP_2) | instskip(NEXT) | instid1(VALU_DEP_1)
	v_dual_cndmask_b32 v5, v5, v1 :: v_dual_cndmask_b32 v4, v4, v6
	v_sub_nc_u64_e64 v[8:9], v[4:5], 0
.LBB41_8:
	s_or_saveexec_b32 s7, s3
	s_load_b64 s[2:3], s[0:1], 0x68
	s_xor_b32 exec_lo, exec_lo, s7
	s_cbranch_execz .LBB41_10
; %bb.9:
	v_cvt_f32_u32_e32 v1, s10
	s_sub_co_i32 s11, 0, s10
	v_mov_b32_e32 v9, 0
	s_delay_alu instid0(VALU_DEP_2) | instskip(SKIP_1) | instid1(TRANS32_DEP_1)
	v_rcp_iflag_f32_e32 v1, v1
	v_nop
	v_mul_f32_e32 v1, 0x4f7ffffe, v1
	s_delay_alu instid0(VALU_DEP_1) | instskip(NEXT) | instid1(VALU_DEP_1)
	v_cvt_u32_f32_e32 v1, v1
	v_mul_lo_u32 v4, s11, v1
	s_delay_alu instid0(VALU_DEP_1) | instskip(NEXT) | instid1(VALU_DEP_1)
	v_mul_hi_u32 v4, v1, v4
	v_add_nc_u32_e32 v1, v1, v4
	s_delay_alu instid0(VALU_DEP_1) | instskip(NEXT) | instid1(VALU_DEP_1)
	v_mul_hi_u32 v1, v2, v1
	v_mul_lo_u32 v1, v1, s10
	s_delay_alu instid0(VALU_DEP_1) | instskip(NEXT) | instid1(VALU_DEP_1)
	v_sub_nc_u32_e32 v1, v2, v1
	v_subrev_nc_u32_e32 v4, s10, v1
	v_cmp_le_u32_e32 vcc_lo, s10, v1
	s_delay_alu instid0(VALU_DEP_2) | instskip(NEXT) | instid1(VALU_DEP_1)
	v_cndmask_b32_e32 v1, v1, v4, vcc_lo
	v_subrev_nc_u32_e32 v4, s10, v1
	v_cmp_le_u32_e32 vcc_lo, s10, v1
	s_delay_alu instid0(VALU_DEP_2)
	v_cndmask_b32_e32 v8, v1, v4, vcc_lo
.LBB41_10:
	s_or_b32 exec_lo, exec_lo, s7
	s_wait_kmcnt 0x0
	v_lshl_add_u64 v[4:5], v[2:3], 3, s[2:3]
	s_mov_b32 s13, 0
	global_load_b64 v[4:5], v[4:5], off
	s_wait_loadcnt 0x0
	v_sub_nc_u64_e64 v[4:5], v[4:5], s[12:13]
	s_delay_alu instid0(VALU_DEP_1)
	v_cmp_lt_i64_e32 vcc_lo, -1, v[4:5]
	s_and_b32 exec_lo, exec_lo, vcc_lo
	s_cbranch_execz .LBB41_32
; %bb.11:
	s_clause 0x1
	s_load_b128 s[12:15], s[0:1], 0x0
	s_load_b64 s[2:3], s[0:1], 0x40
	s_wait_kmcnt 0x0
	s_cmp_eq_u32 s14, 1
	s_cselect_b32 s7, -1, 0
	s_cmp_eq_u32 s12, 0x6f
	s_cselect_b32 s10, -1, 0
	s_cmp_lg_u32 s12, 0x6f
	s_cselect_b32 s11, -1, 0
	s_cmp_lg_u32 s14, 1
	s_cbranch_scc0 .LBB41_15
; %bb.12:
	v_mov_b64_e32 v[6:7], v[8:9]
	s_and_not1_b32 vcc_lo, exec_lo, s10
	s_cbranch_vccnz .LBB41_14
; %bb.13:
	v_mul_u64_e32 v[6:7], s[2:3], v[8:9]
.LBB41_14:
	s_cbranch_execz .LBB41_16
	s_branch .LBB41_19
.LBB41_15:
                                        ; implicit-def: $vgpr6_vgpr7
.LBB41_16:
	s_and_not1_b32 vcc_lo, exec_lo, s11
	s_cbranch_vccnz .LBB41_18
; %bb.17:
	v_mul_u64_e32 v[8:9], s[2:3], v[8:9]
.LBB41_18:
	s_delay_alu instid0(VALU_DEP_1)
	v_mov_b64_e32 v[6:7], v[8:9]
.LBB41_19:
	s_cmp_eq_u32 s15, 1
	s_cselect_b32 s11, -1, 0
	s_cmp_eq_u32 s13, 0x6f
	s_cselect_b32 s12, -1, 0
	s_cmp_lg_u32 s13, 0x6f
	s_cselect_b32 s13, -1, 0
	s_cmp_lg_u32 s15, 1
	s_cbranch_scc0 .LBB41_23
; %bb.20:
	v_mov_b64_e32 v[8:9], v[4:5]
	s_and_not1_b32 vcc_lo, exec_lo, s13
	s_cbranch_vccnz .LBB41_22
; %bb.21:
	v_mul_u64_e32 v[8:9], s[4:5], v[4:5]
.LBB41_22:
	s_cbranch_execz .LBB41_24
	s_branch .LBB41_27
.LBB41_23:
                                        ; implicit-def: $vgpr8_vgpr9
.LBB41_24:
	s_and_not1_b32 vcc_lo, exec_lo, s12
	s_cbranch_vccnz .LBB41_26
; %bb.25:
	v_mul_u64_e32 v[4:5], s[4:5], v[4:5]
.LBB41_26:
	s_delay_alu instid0(VALU_DEP_1)
	v_mov_b64_e32 v[8:9], v[4:5]
.LBB41_27:
	v_cmp_lt_i64_e64 s13, s[8:9], 1
	s_and_b32 vcc_lo, exec_lo, s13
	s_cbranch_vccnz .LBB41_30
; %bb.28:
	s_clause 0x1
	s_load_b64 s[14:15], s[0:1], 0x48
	s_load_b64 s[18:19], s[0:1], 0x38
	s_xor_b32 s7, s10, s7
	v_mov_b32_e32 v1, 0
	s_and_b32 s7, s7, exec_lo
	s_cselect_b32 s21, 0, s3
	s_cselect_b32 s20, 1, s2
	s_xor_b32 s2, s12, s11
	s_delay_alu instid0(SALU_CYCLE_1)
	s_and_b32 s2, s2, exec_lo
	s_cselect_b32 s3, s5, 0
	s_cselect_b32 s2, s4, 1
	s_lshl_b64 s[4:5], s[20:21], 2
	s_lshl_b64 s[2:3], s[2:3], 2
	s_wait_kmcnt 0x0
	v_lshl_add_u64 v[4:5], v[8:9], 2, s[14:15]
	v_lshl_add_u64 v[6:7], v[6:7], 2, s[18:19]
.LBB41_29:                              ; =>This Inner Loop Header: Depth=1
	global_load_b32 v8, v[6:7], off
	global_load_b32 v9, v[4:5], off
	s_wait_xcnt 0x0
	v_add_nc_u64_e32 v[4:5], s[2:3], v[4:5]
	v_add_nc_u64_e32 v[6:7], s[4:5], v[6:7]
	s_add_nc_u64 s[8:9], s[8:9], -1
	s_delay_alu instid0(SALU_CYCLE_1)
	s_cmp_eq_u64 s[8:9], 0
	s_wait_loadcnt 0x0
	v_fmac_f32_e32 v1, v8, v9
	s_cbranch_scc0 .LBB41_29
	s_branch .LBB41_31
.LBB41_30:
	v_mov_b32_e32 v1, 0
.LBB41_31:
	s_load_b64 s[0:1], s[0:1], 0x60
	v_dual_mov_b32 v5, s16 :: v_dual_lshlrev_b32 v4, 2, v0
	ds_store_b32 v4, v1
	s_wait_dscnt 0x0
	s_barrier_signal -1
	s_barrier_wait -1
	ds_load_b32 v1, v4
	v_mov_b32_e32 v4, s6
	s_wait_kmcnt 0x0
	v_lshl_add_u64 v[2:3], v[2:3], 2, s[0:1]
	global_load_b32 v0, v[2:3], off
	s_wait_loadcnt_dscnt 0x0
	v_pk_mul_f32 v[0:1], v[4:5], v[0:1]
	s_delay_alu instid0(VALU_DEP_1)
	v_add_f32_e32 v0, v0, v1
	global_store_b32 v[2:3], v0, off
.LBB41_32:
	s_endpgm
	.section	.rodata,"a",@progbits
	.p2align	6, 0x0
	.amdhsa_kernel _ZN9rocsparseL16sddmm_ell_kernelILi512ELi1EfllfffEEv20rocsparse_operation_S1_16rocsparse_order_S2_T3_S3_S3_T2_NS_24const_host_device_scalarIT1_EEPKT4_lPKT5_lS7_PT6_PKS3_21rocsparse_index_base_b
		.amdhsa_group_segment_fixed_size 2048
		.amdhsa_private_segment_fixed_size 0
		.amdhsa_kernarg_size 120
		.amdhsa_user_sgpr_count 2
		.amdhsa_user_sgpr_dispatch_ptr 0
		.amdhsa_user_sgpr_queue_ptr 0
		.amdhsa_user_sgpr_kernarg_segment_ptr 1
		.amdhsa_user_sgpr_dispatch_id 0
		.amdhsa_user_sgpr_kernarg_preload_length 0
		.amdhsa_user_sgpr_kernarg_preload_offset 0
		.amdhsa_user_sgpr_private_segment_size 0
		.amdhsa_wavefront_size32 1
		.amdhsa_uses_dynamic_stack 0
		.amdhsa_enable_private_segment 0
		.amdhsa_system_sgpr_workgroup_id_x 1
		.amdhsa_system_sgpr_workgroup_id_y 0
		.amdhsa_system_sgpr_workgroup_id_z 0
		.amdhsa_system_sgpr_workgroup_info 0
		.amdhsa_system_vgpr_workitem_id 0
		.amdhsa_next_free_vgpr 14
		.amdhsa_next_free_sgpr 28
		.amdhsa_named_barrier_count 0
		.amdhsa_reserve_vcc 1
		.amdhsa_float_round_mode_32 0
		.amdhsa_float_round_mode_16_64 0
		.amdhsa_float_denorm_mode_32 3
		.amdhsa_float_denorm_mode_16_64 3
		.amdhsa_fp16_overflow 0
		.amdhsa_memory_ordered 1
		.amdhsa_forward_progress 1
		.amdhsa_inst_pref_size 12
		.amdhsa_round_robin_scheduling 0
		.amdhsa_exception_fp_ieee_invalid_op 0
		.amdhsa_exception_fp_denorm_src 0
		.amdhsa_exception_fp_ieee_div_zero 0
		.amdhsa_exception_fp_ieee_overflow 0
		.amdhsa_exception_fp_ieee_underflow 0
		.amdhsa_exception_fp_ieee_inexact 0
		.amdhsa_exception_int_div_zero 0
	.end_amdhsa_kernel
	.section	.text._ZN9rocsparseL16sddmm_ell_kernelILi512ELi1EfllfffEEv20rocsparse_operation_S1_16rocsparse_order_S2_T3_S3_S3_T2_NS_24const_host_device_scalarIT1_EEPKT4_lPKT5_lS7_PT6_PKS3_21rocsparse_index_base_b,"axG",@progbits,_ZN9rocsparseL16sddmm_ell_kernelILi512ELi1EfllfffEEv20rocsparse_operation_S1_16rocsparse_order_S2_T3_S3_S3_T2_NS_24const_host_device_scalarIT1_EEPKT4_lPKT5_lS7_PT6_PKS3_21rocsparse_index_base_b,comdat
.Lfunc_end41:
	.size	_ZN9rocsparseL16sddmm_ell_kernelILi512ELi1EfllfffEEv20rocsparse_operation_S1_16rocsparse_order_S2_T3_S3_S3_T2_NS_24const_host_device_scalarIT1_EEPKT4_lPKT5_lS7_PT6_PKS3_21rocsparse_index_base_b, .Lfunc_end41-_ZN9rocsparseL16sddmm_ell_kernelILi512ELi1EfllfffEEv20rocsparse_operation_S1_16rocsparse_order_S2_T3_S3_S3_T2_NS_24const_host_device_scalarIT1_EEPKT4_lPKT5_lS7_PT6_PKS3_21rocsparse_index_base_b
                                        ; -- End function
	.set _ZN9rocsparseL16sddmm_ell_kernelILi512ELi1EfllfffEEv20rocsparse_operation_S1_16rocsparse_order_S2_T3_S3_S3_T2_NS_24const_host_device_scalarIT1_EEPKT4_lPKT5_lS7_PT6_PKS3_21rocsparse_index_base_b.num_vgpr, 14
	.set _ZN9rocsparseL16sddmm_ell_kernelILi512ELi1EfllfffEEv20rocsparse_operation_S1_16rocsparse_order_S2_T3_S3_S3_T2_NS_24const_host_device_scalarIT1_EEPKT4_lPKT5_lS7_PT6_PKS3_21rocsparse_index_base_b.num_agpr, 0
	.set _ZN9rocsparseL16sddmm_ell_kernelILi512ELi1EfllfffEEv20rocsparse_operation_S1_16rocsparse_order_S2_T3_S3_S3_T2_NS_24const_host_device_scalarIT1_EEPKT4_lPKT5_lS7_PT6_PKS3_21rocsparse_index_base_b.numbered_sgpr, 28
	.set _ZN9rocsparseL16sddmm_ell_kernelILi512ELi1EfllfffEEv20rocsparse_operation_S1_16rocsparse_order_S2_T3_S3_S3_T2_NS_24const_host_device_scalarIT1_EEPKT4_lPKT5_lS7_PT6_PKS3_21rocsparse_index_base_b.num_named_barrier, 0
	.set _ZN9rocsparseL16sddmm_ell_kernelILi512ELi1EfllfffEEv20rocsparse_operation_S1_16rocsparse_order_S2_T3_S3_S3_T2_NS_24const_host_device_scalarIT1_EEPKT4_lPKT5_lS7_PT6_PKS3_21rocsparse_index_base_b.private_seg_size, 0
	.set _ZN9rocsparseL16sddmm_ell_kernelILi512ELi1EfllfffEEv20rocsparse_operation_S1_16rocsparse_order_S2_T3_S3_S3_T2_NS_24const_host_device_scalarIT1_EEPKT4_lPKT5_lS7_PT6_PKS3_21rocsparse_index_base_b.uses_vcc, 1
	.set _ZN9rocsparseL16sddmm_ell_kernelILi512ELi1EfllfffEEv20rocsparse_operation_S1_16rocsparse_order_S2_T3_S3_S3_T2_NS_24const_host_device_scalarIT1_EEPKT4_lPKT5_lS7_PT6_PKS3_21rocsparse_index_base_b.uses_flat_scratch, 0
	.set _ZN9rocsparseL16sddmm_ell_kernelILi512ELi1EfllfffEEv20rocsparse_operation_S1_16rocsparse_order_S2_T3_S3_S3_T2_NS_24const_host_device_scalarIT1_EEPKT4_lPKT5_lS7_PT6_PKS3_21rocsparse_index_base_b.has_dyn_sized_stack, 0
	.set _ZN9rocsparseL16sddmm_ell_kernelILi512ELi1EfllfffEEv20rocsparse_operation_S1_16rocsparse_order_S2_T3_S3_S3_T2_NS_24const_host_device_scalarIT1_EEPKT4_lPKT5_lS7_PT6_PKS3_21rocsparse_index_base_b.has_recursion, 0
	.set _ZN9rocsparseL16sddmm_ell_kernelILi512ELi1EfllfffEEv20rocsparse_operation_S1_16rocsparse_order_S2_T3_S3_S3_T2_NS_24const_host_device_scalarIT1_EEPKT4_lPKT5_lS7_PT6_PKS3_21rocsparse_index_base_b.has_indirect_call, 0
	.section	.AMDGPU.csdata,"",@progbits
; Kernel info:
; codeLenInByte = 1488
; TotalNumSgprs: 30
; NumVgprs: 14
; ScratchSize: 0
; MemoryBound: 0
; FloatMode: 240
; IeeeMode: 1
; LDSByteSize: 2048 bytes/workgroup (compile time only)
; SGPRBlocks: 0
; VGPRBlocks: 0
; NumSGPRsForWavesPerEU: 30
; NumVGPRsForWavesPerEU: 14
; NamedBarCnt: 0
; Occupancy: 16
; WaveLimiterHint : 0
; COMPUTE_PGM_RSRC2:SCRATCH_EN: 0
; COMPUTE_PGM_RSRC2:USER_SGPR: 2
; COMPUTE_PGM_RSRC2:TRAP_HANDLER: 0
; COMPUTE_PGM_RSRC2:TGID_X_EN: 1
; COMPUTE_PGM_RSRC2:TGID_Y_EN: 0
; COMPUTE_PGM_RSRC2:TGID_Z_EN: 0
; COMPUTE_PGM_RSRC2:TIDIG_COMP_CNT: 0
	.section	.text._ZN9rocsparseL23sddmm_ell_sample_kernelILi16ELi32EdldEEvT2_S1_PKT3_lS1_PS2_PKS1_21rocsparse_index_base_,"axG",@progbits,_ZN9rocsparseL23sddmm_ell_sample_kernelILi16ELi32EdldEEvT2_S1_PKT3_lS1_PS2_PKS1_21rocsparse_index_base_,comdat
	.globl	_ZN9rocsparseL23sddmm_ell_sample_kernelILi16ELi32EdldEEvT2_S1_PKT3_lS1_PS2_PKS1_21rocsparse_index_base_ ; -- Begin function _ZN9rocsparseL23sddmm_ell_sample_kernelILi16ELi32EdldEEvT2_S1_PKT3_lS1_PS2_PKS1_21rocsparse_index_base_
	.p2align	8
	.type	_ZN9rocsparseL23sddmm_ell_sample_kernelILi16ELi32EdldEEvT2_S1_PKT3_lS1_PS2_PKS1_21rocsparse_index_base_,@function
_ZN9rocsparseL23sddmm_ell_sample_kernelILi16ELi32EdldEEvT2_S1_PKT3_lS1_PS2_PKS1_21rocsparse_index_base_: ; @_ZN9rocsparseL23sddmm_ell_sample_kernelILi16ELi32EdldEEvT2_S1_PKT3_lS1_PS2_PKS1_21rocsparse_index_base_
; %bb.0:
	s_load_b128 s[8:11], s[0:1], 0x18
	s_bfe_u32 s2, ttmp6, 0x4000c
	s_and_b32 s3, ttmp6, 15
	s_add_co_i32 s2, s2, 1
	s_getreg_b32 s4, hwreg(HW_REG_IB_STS2, 6, 4)
	s_mul_i32 s2, ttmp9, s2
	v_dual_mov_b32 v1, 0 :: v_dual_lshrrev_b32 v2, 5, v0
	s_add_co_i32 s3, s3, s2
	s_cmp_eq_u32 s4, 0
	s_cselect_b32 s2, ttmp9, s3
	s_delay_alu instid0(VALU_DEP_1) | instskip(SKIP_3) | instid1(VALU_DEP_1)
	v_mov_b32_e32 v3, v1
	v_lshl_or_b32 v2, s2, 4, v2
	s_mov_b32 s2, exec_lo
	s_wait_kmcnt 0x0
	v_cmpx_gt_i64_e64 s[10:11], v[2:3]
	s_cbranch_execz .LBB42_6
; %bb.1:
	s_load_b128 s[4:7], s[0:1], 0x0
	v_and_b32_e32 v0, 31, v0
	s_wait_kmcnt 0x0
	s_delay_alu instid0(VALU_DEP_1)
	v_cmp_gt_i64_e32 vcc_lo, s[4:5], v[0:1]
	s_and_b32 exec_lo, exec_lo, vcc_lo
	s_cbranch_execz .LBB42_6
; %bb.2:
	v_mad_nc_u64_u32 v[4:5], s4, v2, v[0:1]
	s_clause 0x2
	s_load_b128 s[12:15], s[0:1], 0x28
	s_load_b64 s[10:11], s[0:1], 0x10
	s_load_b32 s2, s[0:1], 0x38
	v_dual_mov_b32 v7, 0 :: v_dual_lshlrev_b32 v6, 3, v0
	s_mov_b32 s3, 0
	s_lshl_b64 s[8:9], s[8:9], 3
	s_wait_xcnt 0x0
	s_mov_b32 s1, s3
	s_delay_alu instid0(VALU_DEP_2) | instskip(SKIP_2) | instid1(VALU_DEP_2)
	v_mad_u32 v5, s5, v2, v5
	s_wait_kmcnt 0x0
	v_add_nc_u64_e32 v[6:7], s[10:11], v[6:7]
	v_lshlrev_b64_e32 v[4:5], 3, v[4:5]
	s_delay_alu instid0(VALU_DEP_1)
	v_add_nc_u64_e32 v[2:3], s[14:15], v[4:5]
	v_add_nc_u64_e32 v[4:5], s[12:13], v[4:5]
	s_branch .LBB42_4
.LBB42_3:                               ;   in Loop: Header=BB42_4 Depth=1
	s_wait_xcnt 0x0
	s_or_b32 exec_lo, exec_lo, s0
	v_add_nc_u64_e32 v[0:1], 32, v[0:1]
	v_add_nc_u64_e32 v[2:3], 0x100, v[2:3]
	;; [unrolled: 1-line block ×4, first 2 shown]
	s_delay_alu instid0(VALU_DEP_4) | instskip(SKIP_1) | instid1(SALU_CYCLE_1)
	v_cmp_le_i64_e32 vcc_lo, s[4:5], v[0:1]
	s_or_b32 s1, vcc_lo, s1
	s_and_not1_b32 exec_lo, exec_lo, s1
	s_cbranch_execz .LBB42_6
.LBB42_4:                               ; =>This Inner Loop Header: Depth=1
	global_load_b64 v[8:9], v[2:3], off
	s_wait_loadcnt 0x0
	v_sub_nc_u64_e64 v[8:9], v[8:9], s[2:3]
	s_delay_alu instid0(VALU_DEP_1)
	v_cmp_lt_i64_e32 vcc_lo, -1, v[8:9]
	v_cmp_gt_i64_e64 s0, s[6:7], v[8:9]
	s_and_b32 s10, vcc_lo, s0
	s_wait_xcnt 0x0
	s_and_saveexec_b32 s0, s10
	s_cbranch_execz .LBB42_3
; %bb.5:                                ;   in Loop: Header=BB42_4 Depth=1
	v_mad_nc_u64_u32 v[10:11], s8, v8, v[6:7]
	s_delay_alu instid0(VALU_DEP_1) | instskip(NEXT) | instid1(VALU_DEP_1)
	v_mad_u32 v8, s9, v8, v11
	v_mad_u32 v11, s8, v9, v8
	global_load_b64 v[8:9], v[10:11], off
	s_wait_loadcnt 0x0
	global_store_b64 v[4:5], v[8:9], off
	s_branch .LBB42_3
.LBB42_6:
	s_endpgm
	.section	.rodata,"a",@progbits
	.p2align	6, 0x0
	.amdhsa_kernel _ZN9rocsparseL23sddmm_ell_sample_kernelILi16ELi32EdldEEvT2_S1_PKT3_lS1_PS2_PKS1_21rocsparse_index_base_
		.amdhsa_group_segment_fixed_size 0
		.amdhsa_private_segment_fixed_size 0
		.amdhsa_kernarg_size 60
		.amdhsa_user_sgpr_count 2
		.amdhsa_user_sgpr_dispatch_ptr 0
		.amdhsa_user_sgpr_queue_ptr 0
		.amdhsa_user_sgpr_kernarg_segment_ptr 1
		.amdhsa_user_sgpr_dispatch_id 0
		.amdhsa_user_sgpr_kernarg_preload_length 0
		.amdhsa_user_sgpr_kernarg_preload_offset 0
		.amdhsa_user_sgpr_private_segment_size 0
		.amdhsa_wavefront_size32 1
		.amdhsa_uses_dynamic_stack 0
		.amdhsa_enable_private_segment 0
		.amdhsa_system_sgpr_workgroup_id_x 1
		.amdhsa_system_sgpr_workgroup_id_y 0
		.amdhsa_system_sgpr_workgroup_id_z 0
		.amdhsa_system_sgpr_workgroup_info 0
		.amdhsa_system_vgpr_workitem_id 0
		.amdhsa_next_free_vgpr 12
		.amdhsa_next_free_sgpr 16
		.amdhsa_named_barrier_count 0
		.amdhsa_reserve_vcc 1
		.amdhsa_float_round_mode_32 0
		.amdhsa_float_round_mode_16_64 0
		.amdhsa_float_denorm_mode_32 3
		.amdhsa_float_denorm_mode_16_64 3
		.amdhsa_fp16_overflow 0
		.amdhsa_memory_ordered 1
		.amdhsa_forward_progress 1
		.amdhsa_inst_pref_size 4
		.amdhsa_round_robin_scheduling 0
		.amdhsa_exception_fp_ieee_invalid_op 0
		.amdhsa_exception_fp_denorm_src 0
		.amdhsa_exception_fp_ieee_div_zero 0
		.amdhsa_exception_fp_ieee_overflow 0
		.amdhsa_exception_fp_ieee_underflow 0
		.amdhsa_exception_fp_ieee_inexact 0
		.amdhsa_exception_int_div_zero 0
	.end_amdhsa_kernel
	.section	.text._ZN9rocsparseL23sddmm_ell_sample_kernelILi16ELi32EdldEEvT2_S1_PKT3_lS1_PS2_PKS1_21rocsparse_index_base_,"axG",@progbits,_ZN9rocsparseL23sddmm_ell_sample_kernelILi16ELi32EdldEEvT2_S1_PKT3_lS1_PS2_PKS1_21rocsparse_index_base_,comdat
.Lfunc_end42:
	.size	_ZN9rocsparseL23sddmm_ell_sample_kernelILi16ELi32EdldEEvT2_S1_PKT3_lS1_PS2_PKS1_21rocsparse_index_base_, .Lfunc_end42-_ZN9rocsparseL23sddmm_ell_sample_kernelILi16ELi32EdldEEvT2_S1_PKT3_lS1_PS2_PKS1_21rocsparse_index_base_
                                        ; -- End function
	.set _ZN9rocsparseL23sddmm_ell_sample_kernelILi16ELi32EdldEEvT2_S1_PKT3_lS1_PS2_PKS1_21rocsparse_index_base_.num_vgpr, 12
	.set _ZN9rocsparseL23sddmm_ell_sample_kernelILi16ELi32EdldEEvT2_S1_PKT3_lS1_PS2_PKS1_21rocsparse_index_base_.num_agpr, 0
	.set _ZN9rocsparseL23sddmm_ell_sample_kernelILi16ELi32EdldEEvT2_S1_PKT3_lS1_PS2_PKS1_21rocsparse_index_base_.numbered_sgpr, 16
	.set _ZN9rocsparseL23sddmm_ell_sample_kernelILi16ELi32EdldEEvT2_S1_PKT3_lS1_PS2_PKS1_21rocsparse_index_base_.num_named_barrier, 0
	.set _ZN9rocsparseL23sddmm_ell_sample_kernelILi16ELi32EdldEEvT2_S1_PKT3_lS1_PS2_PKS1_21rocsparse_index_base_.private_seg_size, 0
	.set _ZN9rocsparseL23sddmm_ell_sample_kernelILi16ELi32EdldEEvT2_S1_PKT3_lS1_PS2_PKS1_21rocsparse_index_base_.uses_vcc, 1
	.set _ZN9rocsparseL23sddmm_ell_sample_kernelILi16ELi32EdldEEvT2_S1_PKT3_lS1_PS2_PKS1_21rocsparse_index_base_.uses_flat_scratch, 0
	.set _ZN9rocsparseL23sddmm_ell_sample_kernelILi16ELi32EdldEEvT2_S1_PKT3_lS1_PS2_PKS1_21rocsparse_index_base_.has_dyn_sized_stack, 0
	.set _ZN9rocsparseL23sddmm_ell_sample_kernelILi16ELi32EdldEEvT2_S1_PKT3_lS1_PS2_PKS1_21rocsparse_index_base_.has_recursion, 0
	.set _ZN9rocsparseL23sddmm_ell_sample_kernelILi16ELi32EdldEEvT2_S1_PKT3_lS1_PS2_PKS1_21rocsparse_index_base_.has_indirect_call, 0
	.section	.AMDGPU.csdata,"",@progbits
; Kernel info:
; codeLenInByte = 396
; TotalNumSgprs: 18
; NumVgprs: 12
; ScratchSize: 0
; MemoryBound: 0
; FloatMode: 240
; IeeeMode: 1
; LDSByteSize: 0 bytes/workgroup (compile time only)
; SGPRBlocks: 0
; VGPRBlocks: 0
; NumSGPRsForWavesPerEU: 18
; NumVGPRsForWavesPerEU: 12
; NamedBarCnt: 0
; Occupancy: 16
; WaveLimiterHint : 1
; COMPUTE_PGM_RSRC2:SCRATCH_EN: 0
; COMPUTE_PGM_RSRC2:USER_SGPR: 2
; COMPUTE_PGM_RSRC2:TRAP_HANDLER: 0
; COMPUTE_PGM_RSRC2:TGID_X_EN: 1
; COMPUTE_PGM_RSRC2:TGID_Y_EN: 0
; COMPUTE_PGM_RSRC2:TGID_Z_EN: 0
; COMPUTE_PGM_RSRC2:TIDIG_COMP_CNT: 0
	.section	.text._ZN9rocsparseL23sddmm_ell_sample_kernelILi16ELi64EdldEEvT2_S1_PKT3_lS1_PS2_PKS1_21rocsparse_index_base_,"axG",@progbits,_ZN9rocsparseL23sddmm_ell_sample_kernelILi16ELi64EdldEEvT2_S1_PKT3_lS1_PS2_PKS1_21rocsparse_index_base_,comdat
	.globl	_ZN9rocsparseL23sddmm_ell_sample_kernelILi16ELi64EdldEEvT2_S1_PKT3_lS1_PS2_PKS1_21rocsparse_index_base_ ; -- Begin function _ZN9rocsparseL23sddmm_ell_sample_kernelILi16ELi64EdldEEvT2_S1_PKT3_lS1_PS2_PKS1_21rocsparse_index_base_
	.p2align	8
	.type	_ZN9rocsparseL23sddmm_ell_sample_kernelILi16ELi64EdldEEvT2_S1_PKT3_lS1_PS2_PKS1_21rocsparse_index_base_,@function
_ZN9rocsparseL23sddmm_ell_sample_kernelILi16ELi64EdldEEvT2_S1_PKT3_lS1_PS2_PKS1_21rocsparse_index_base_: ; @_ZN9rocsparseL23sddmm_ell_sample_kernelILi16ELi64EdldEEvT2_S1_PKT3_lS1_PS2_PKS1_21rocsparse_index_base_
; %bb.0:
	s_load_b128 s[8:11], s[0:1], 0x18
	s_bfe_u32 s2, ttmp6, 0x4000c
	s_and_b32 s3, ttmp6, 15
	s_add_co_i32 s2, s2, 1
	s_getreg_b32 s4, hwreg(HW_REG_IB_STS2, 6, 4)
	s_mul_i32 s2, ttmp9, s2
	v_dual_mov_b32 v1, 0 :: v_dual_lshrrev_b32 v2, 6, v0
	s_add_co_i32 s3, s3, s2
	s_cmp_eq_u32 s4, 0
	s_cselect_b32 s2, ttmp9, s3
	s_delay_alu instid0(VALU_DEP_1) | instskip(SKIP_3) | instid1(VALU_DEP_1)
	v_mov_b32_e32 v3, v1
	v_lshl_or_b32 v2, s2, 4, v2
	s_mov_b32 s2, exec_lo
	s_wait_kmcnt 0x0
	v_cmpx_gt_i64_e64 s[10:11], v[2:3]
	s_cbranch_execz .LBB43_6
; %bb.1:
	s_load_b128 s[4:7], s[0:1], 0x0
	v_and_b32_e32 v0, 63, v0
	s_wait_kmcnt 0x0
	s_delay_alu instid0(VALU_DEP_1)
	v_cmp_gt_i64_e32 vcc_lo, s[4:5], v[0:1]
	s_and_b32 exec_lo, exec_lo, vcc_lo
	s_cbranch_execz .LBB43_6
; %bb.2:
	v_mad_nc_u64_u32 v[4:5], s4, v2, v[0:1]
	s_clause 0x2
	s_load_b128 s[12:15], s[0:1], 0x28
	s_load_b64 s[10:11], s[0:1], 0x10
	s_load_b32 s2, s[0:1], 0x38
	v_dual_mov_b32 v7, 0 :: v_dual_lshlrev_b32 v6, 3, v0
	s_mov_b32 s3, 0
	s_lshl_b64 s[8:9], s[8:9], 3
	s_wait_xcnt 0x0
	s_mov_b32 s1, s3
	s_delay_alu instid0(VALU_DEP_2) | instskip(SKIP_2) | instid1(VALU_DEP_2)
	v_mad_u32 v5, s5, v2, v5
	s_wait_kmcnt 0x0
	v_add_nc_u64_e32 v[6:7], s[10:11], v[6:7]
	v_lshlrev_b64_e32 v[4:5], 3, v[4:5]
	s_delay_alu instid0(VALU_DEP_1)
	v_add_nc_u64_e32 v[2:3], s[14:15], v[4:5]
	v_add_nc_u64_e32 v[4:5], s[12:13], v[4:5]
	s_branch .LBB43_4
.LBB43_3:                               ;   in Loop: Header=BB43_4 Depth=1
	s_wait_xcnt 0x0
	s_or_b32 exec_lo, exec_lo, s0
	v_add_nc_u64_e32 v[0:1], 64, v[0:1]
	v_add_nc_u64_e32 v[2:3], 0x200, v[2:3]
	;; [unrolled: 1-line block ×4, first 2 shown]
	s_delay_alu instid0(VALU_DEP_4) | instskip(SKIP_1) | instid1(SALU_CYCLE_1)
	v_cmp_le_i64_e32 vcc_lo, s[4:5], v[0:1]
	s_or_b32 s1, vcc_lo, s1
	s_and_not1_b32 exec_lo, exec_lo, s1
	s_cbranch_execz .LBB43_6
.LBB43_4:                               ; =>This Inner Loop Header: Depth=1
	global_load_b64 v[8:9], v[2:3], off
	s_wait_loadcnt 0x0
	v_sub_nc_u64_e64 v[8:9], v[8:9], s[2:3]
	s_delay_alu instid0(VALU_DEP_1)
	v_cmp_lt_i64_e32 vcc_lo, -1, v[8:9]
	v_cmp_gt_i64_e64 s0, s[6:7], v[8:9]
	s_and_b32 s10, vcc_lo, s0
	s_wait_xcnt 0x0
	s_and_saveexec_b32 s0, s10
	s_cbranch_execz .LBB43_3
; %bb.5:                                ;   in Loop: Header=BB43_4 Depth=1
	v_mad_nc_u64_u32 v[10:11], s8, v8, v[6:7]
	s_delay_alu instid0(VALU_DEP_1) | instskip(NEXT) | instid1(VALU_DEP_1)
	v_mad_u32 v8, s9, v8, v11
	v_mad_u32 v11, s8, v9, v8
	global_load_b64 v[8:9], v[10:11], off
	s_wait_loadcnt 0x0
	global_store_b64 v[4:5], v[8:9], off
	s_branch .LBB43_3
.LBB43_6:
	s_endpgm
	.section	.rodata,"a",@progbits
	.p2align	6, 0x0
	.amdhsa_kernel _ZN9rocsparseL23sddmm_ell_sample_kernelILi16ELi64EdldEEvT2_S1_PKT3_lS1_PS2_PKS1_21rocsparse_index_base_
		.amdhsa_group_segment_fixed_size 0
		.amdhsa_private_segment_fixed_size 0
		.amdhsa_kernarg_size 60
		.amdhsa_user_sgpr_count 2
		.amdhsa_user_sgpr_dispatch_ptr 0
		.amdhsa_user_sgpr_queue_ptr 0
		.amdhsa_user_sgpr_kernarg_segment_ptr 1
		.amdhsa_user_sgpr_dispatch_id 0
		.amdhsa_user_sgpr_kernarg_preload_length 0
		.amdhsa_user_sgpr_kernarg_preload_offset 0
		.amdhsa_user_sgpr_private_segment_size 0
		.amdhsa_wavefront_size32 1
		.amdhsa_uses_dynamic_stack 0
		.amdhsa_enable_private_segment 0
		.amdhsa_system_sgpr_workgroup_id_x 1
		.amdhsa_system_sgpr_workgroup_id_y 0
		.amdhsa_system_sgpr_workgroup_id_z 0
		.amdhsa_system_sgpr_workgroup_info 0
		.amdhsa_system_vgpr_workitem_id 0
		.amdhsa_next_free_vgpr 12
		.amdhsa_next_free_sgpr 16
		.amdhsa_named_barrier_count 0
		.amdhsa_reserve_vcc 1
		.amdhsa_float_round_mode_32 0
		.amdhsa_float_round_mode_16_64 0
		.amdhsa_float_denorm_mode_32 3
		.amdhsa_float_denorm_mode_16_64 3
		.amdhsa_fp16_overflow 0
		.amdhsa_memory_ordered 1
		.amdhsa_forward_progress 1
		.amdhsa_inst_pref_size 4
		.amdhsa_round_robin_scheduling 0
		.amdhsa_exception_fp_ieee_invalid_op 0
		.amdhsa_exception_fp_denorm_src 0
		.amdhsa_exception_fp_ieee_div_zero 0
		.amdhsa_exception_fp_ieee_overflow 0
		.amdhsa_exception_fp_ieee_underflow 0
		.amdhsa_exception_fp_ieee_inexact 0
		.amdhsa_exception_int_div_zero 0
	.end_amdhsa_kernel
	.section	.text._ZN9rocsparseL23sddmm_ell_sample_kernelILi16ELi64EdldEEvT2_S1_PKT3_lS1_PS2_PKS1_21rocsparse_index_base_,"axG",@progbits,_ZN9rocsparseL23sddmm_ell_sample_kernelILi16ELi64EdldEEvT2_S1_PKT3_lS1_PS2_PKS1_21rocsparse_index_base_,comdat
.Lfunc_end43:
	.size	_ZN9rocsparseL23sddmm_ell_sample_kernelILi16ELi64EdldEEvT2_S1_PKT3_lS1_PS2_PKS1_21rocsparse_index_base_, .Lfunc_end43-_ZN9rocsparseL23sddmm_ell_sample_kernelILi16ELi64EdldEEvT2_S1_PKT3_lS1_PS2_PKS1_21rocsparse_index_base_
                                        ; -- End function
	.set _ZN9rocsparseL23sddmm_ell_sample_kernelILi16ELi64EdldEEvT2_S1_PKT3_lS1_PS2_PKS1_21rocsparse_index_base_.num_vgpr, 12
	.set _ZN9rocsparseL23sddmm_ell_sample_kernelILi16ELi64EdldEEvT2_S1_PKT3_lS1_PS2_PKS1_21rocsparse_index_base_.num_agpr, 0
	.set _ZN9rocsparseL23sddmm_ell_sample_kernelILi16ELi64EdldEEvT2_S1_PKT3_lS1_PS2_PKS1_21rocsparse_index_base_.numbered_sgpr, 16
	.set _ZN9rocsparseL23sddmm_ell_sample_kernelILi16ELi64EdldEEvT2_S1_PKT3_lS1_PS2_PKS1_21rocsparse_index_base_.num_named_barrier, 0
	.set _ZN9rocsparseL23sddmm_ell_sample_kernelILi16ELi64EdldEEvT2_S1_PKT3_lS1_PS2_PKS1_21rocsparse_index_base_.private_seg_size, 0
	.set _ZN9rocsparseL23sddmm_ell_sample_kernelILi16ELi64EdldEEvT2_S1_PKT3_lS1_PS2_PKS1_21rocsparse_index_base_.uses_vcc, 1
	.set _ZN9rocsparseL23sddmm_ell_sample_kernelILi16ELi64EdldEEvT2_S1_PKT3_lS1_PS2_PKS1_21rocsparse_index_base_.uses_flat_scratch, 0
	.set _ZN9rocsparseL23sddmm_ell_sample_kernelILi16ELi64EdldEEvT2_S1_PKT3_lS1_PS2_PKS1_21rocsparse_index_base_.has_dyn_sized_stack, 0
	.set _ZN9rocsparseL23sddmm_ell_sample_kernelILi16ELi64EdldEEvT2_S1_PKT3_lS1_PS2_PKS1_21rocsparse_index_base_.has_recursion, 0
	.set _ZN9rocsparseL23sddmm_ell_sample_kernelILi16ELi64EdldEEvT2_S1_PKT3_lS1_PS2_PKS1_21rocsparse_index_base_.has_indirect_call, 0
	.section	.AMDGPU.csdata,"",@progbits
; Kernel info:
; codeLenInByte = 396
; TotalNumSgprs: 18
; NumVgprs: 12
; ScratchSize: 0
; MemoryBound: 0
; FloatMode: 240
; IeeeMode: 1
; LDSByteSize: 0 bytes/workgroup (compile time only)
; SGPRBlocks: 0
; VGPRBlocks: 0
; NumSGPRsForWavesPerEU: 18
; NumVGPRsForWavesPerEU: 12
; NamedBarCnt: 0
; Occupancy: 16
; WaveLimiterHint : 1
; COMPUTE_PGM_RSRC2:SCRATCH_EN: 0
; COMPUTE_PGM_RSRC2:USER_SGPR: 2
; COMPUTE_PGM_RSRC2:TRAP_HANDLER: 0
; COMPUTE_PGM_RSRC2:TGID_X_EN: 1
; COMPUTE_PGM_RSRC2:TGID_Y_EN: 0
; COMPUTE_PGM_RSRC2:TGID_Z_EN: 0
; COMPUTE_PGM_RSRC2:TIDIG_COMP_CNT: 0
	.section	.text._ZN9rocsparseL16sddmm_ell_kernelILi512ELi8EdlldddEEv20rocsparse_operation_S1_16rocsparse_order_S2_T3_S3_S3_T2_NS_24const_host_device_scalarIT1_EEPKT4_lPKT5_lS7_PT6_PKS3_21rocsparse_index_base_b,"axG",@progbits,_ZN9rocsparseL16sddmm_ell_kernelILi512ELi8EdlldddEEv20rocsparse_operation_S1_16rocsparse_order_S2_T3_S3_S3_T2_NS_24const_host_device_scalarIT1_EEPKT4_lPKT5_lS7_PT6_PKS3_21rocsparse_index_base_b,comdat
	.globl	_ZN9rocsparseL16sddmm_ell_kernelILi512ELi8EdlldddEEv20rocsparse_operation_S1_16rocsparse_order_S2_T3_S3_S3_T2_NS_24const_host_device_scalarIT1_EEPKT4_lPKT5_lS7_PT6_PKS3_21rocsparse_index_base_b ; -- Begin function _ZN9rocsparseL16sddmm_ell_kernelILi512ELi8EdlldddEEv20rocsparse_operation_S1_16rocsparse_order_S2_T3_S3_S3_T2_NS_24const_host_device_scalarIT1_EEPKT4_lPKT5_lS7_PT6_PKS3_21rocsparse_index_base_b
	.p2align	8
	.type	_ZN9rocsparseL16sddmm_ell_kernelILi512ELi8EdlldddEEv20rocsparse_operation_S1_16rocsparse_order_S2_T3_S3_S3_T2_NS_24const_host_device_scalarIT1_EEPKT4_lPKT5_lS7_PT6_PKS3_21rocsparse_index_base_b,@function
_ZN9rocsparseL16sddmm_ell_kernelILi512ELi8EdlldddEEv20rocsparse_operation_S1_16rocsparse_order_S2_T3_S3_S3_T2_NS_24const_host_device_scalarIT1_EEPKT4_lPKT5_lS7_PT6_PKS3_21rocsparse_index_base_b: ; @_ZN9rocsparseL16sddmm_ell_kernelILi512ELi8EdlldddEEv20rocsparse_operation_S1_16rocsparse_order_S2_T3_S3_S3_T2_NS_24const_host_device_scalarIT1_EEPKT4_lPKT5_lS7_PT6_PKS3_21rocsparse_index_base_b
; %bb.0:
	s_clause 0x2
	s_load_b64 s[12:13], s[0:1], 0x70
	s_load_b64 s[2:3], s[0:1], 0x30
	s_load_b128 s[8:11], s[0:1], 0x50
	s_wait_kmcnt 0x0
	s_bitcmp1_b32 s13, 0
	v_mov_b64_e32 v[2:3], s[2:3]
	s_cselect_b32 s4, -1, 0
	s_delay_alu instid0(SALU_CYCLE_1)
	s_and_b32 vcc_lo, exec_lo, s4
	s_xor_b32 s4, s4, -1
	s_cbranch_vccnz .LBB44_2
; %bb.1:
	v_mov_b32_e32 v1, 0
	flat_load_b64 v[2:3], v1, s[2:3]
.LBB44_2:
	v_mov_b64_e32 v[4:5], s[10:11]
	s_and_not1_b32 vcc_lo, exec_lo, s4
	s_cbranch_vccnz .LBB44_4
; %bb.3:
	s_wait_xcnt 0x0
	v_mov_b32_e32 v1, 0
	flat_load_b64 v[4:5], v1, s[10:11]
.LBB44_4:
	s_wait_loadcnt_dscnt 0x0
	v_cmp_neq_f64_e32 vcc_lo, 0, v[2:3]
	s_delay_alu instid0(VALU_DEP_2) | instskip(SKIP_1) | instid1(SALU_CYCLE_1)
	v_cmp_neq_f64_e64 s2, 1.0, v[4:5]
	s_or_b32 s2, vcc_lo, s2
	s_and_saveexec_b32 s3, s2
	s_cbranch_execz .LBB44_39
; %bb.5:
	s_load_b128 s[4:7], s[0:1], 0x20
	s_bfe_u32 s2, ttmp6, 0x4000c
	s_and_b32 s3, ttmp6, 15
	s_add_co_i32 s2, s2, 1
	s_getreg_b32 s10, hwreg(HW_REG_IB_STS2, 6, 4)
	s_mul_i32 s2, ttmp9, s2
	v_dual_mov_b32 v7, 0 :: v_dual_lshrrev_b32 v16, 3, v0
	s_add_co_i32 s3, s3, s2
	s_cmp_eq_u32 s10, 0
	s_cselect_b32 s2, ttmp9, s3
	s_delay_alu instid0(VALU_DEP_1) | instid1(SALU_CYCLE_1)
	v_lshl_or_b32 v6, s2, 6, v16
	s_wait_kmcnt 0x0
	s_delay_alu instid0(VALU_DEP_1)
	v_cmp_gt_i64_e32 vcc_lo, s[6:7], v[6:7]
	s_and_b32 exec_lo, exec_lo, vcc_lo
	s_cbranch_execz .LBB44_39
; %bb.6:
	s_load_b64 s[6:7], s[0:1], 0x10
                                        ; implicit-def: $vgpr12_vgpr13
	s_wait_kmcnt 0x0
	s_and_b64 s[2:3], s[6:7], 0xffffffff00000000
	s_delay_alu instid0(SALU_CYCLE_1) | instskip(SKIP_1) | instid1(SALU_CYCLE_1)
	s_cmp_lg_u64 s[2:3], 0
	s_cselect_b32 s2, -1, 0
	s_and_saveexec_b32 s3, s2
	s_delay_alu instid0(SALU_CYCLE_1)
	s_xor_b32 s3, exec_lo, s3
	s_cbranch_execz .LBB44_8
; %bb.7:
	s_ashr_i32 s10, s7, 31
	s_mov_b32 s21, 0
	s_mov_b32 s11, s10
	v_add_nc_u64_e32 v[8:9], 0, v[6:7]
	s_add_nc_u64 s[14:15], s[6:7], s[10:11]
	v_mov_b32_e32 v11, 0
	s_xor_b64 s[10:11], s[14:15], s[10:11]
	s_delay_alu instid0(SALU_CYCLE_1) | instskip(SKIP_3) | instid1(SALU_CYCLE_1)
	s_cvt_f32_u32 s2, s10
	s_cvt_f32_u32 s7, s11
	s_sub_nc_u64 s[16:17], 0, s[10:11]
	v_mov_b32_e32 v10, v8
	s_fmamk_f32 s2, s7, 0x4f800000, s2
	s_delay_alu instid0(SALU_CYCLE_3) | instskip(NEXT) | instid1(TRANS32_DEP_1)
	v_s_rcp_f32 s2, s2
	s_mul_f32 s2, s2, 0x5f7ffffc
	s_delay_alu instid0(SALU_CYCLE_3) | instskip(NEXT) | instid1(SALU_CYCLE_3)
	s_mul_f32 s7, s2, 0x2f800000
	s_trunc_f32 s7, s7
	s_delay_alu instid0(SALU_CYCLE_3) | instskip(SKIP_1) | instid1(SALU_CYCLE_2)
	s_fmamk_f32 s2, s7, 0xcf800000, s2
	s_cvt_u32_f32 s15, s7
	s_cvt_u32_f32 s14, s2
	s_delay_alu instid0(SALU_CYCLE_3) | instskip(NEXT) | instid1(SALU_CYCLE_1)
	s_mul_u64 s[18:19], s[16:17], s[14:15]
	s_mul_hi_u32 s23, s14, s19
	s_mul_i32 s22, s14, s19
	s_mul_hi_u32 s20, s14, s18
	s_mul_i32 s7, s15, s18
	s_add_nc_u64 s[22:23], s[20:21], s[22:23]
	s_mul_hi_u32 s2, s15, s18
	s_mul_hi_u32 s13, s15, s19
	s_add_co_u32 s7, s22, s7
	s_add_co_ci_u32 s20, s23, s2
	s_mul_i32 s18, s15, s19
	s_add_co_ci_u32 s19, s13, 0
	s_delay_alu instid0(SALU_CYCLE_1) | instskip(NEXT) | instid1(SALU_CYCLE_1)
	s_add_nc_u64 s[18:19], s[20:21], s[18:19]
	s_add_co_u32 s14, s14, s18
	s_cselect_b32 s2, -1, 0
	s_delay_alu instid0(SALU_CYCLE_1) | instskip(SKIP_1) | instid1(SALU_CYCLE_1)
	s_cmp_lg_u32 s2, 0
	s_add_co_ci_u32 s15, s15, s19
	s_mul_u64 s[16:17], s[16:17], s[14:15]
	s_delay_alu instid0(SALU_CYCLE_1)
	s_mul_hi_u32 s19, s14, s17
	s_mul_i32 s18, s14, s17
	s_mul_hi_u32 s20, s14, s16
	s_mul_i32 s7, s15, s16
	s_add_nc_u64 s[18:19], s[20:21], s[18:19]
	s_mul_hi_u32 s2, s15, s16
	s_mul_hi_u32 s13, s15, s17
	s_add_co_u32 s7, s18, s7
	s_add_co_ci_u32 s20, s19, s2
	s_mul_i32 s16, s15, s17
	s_add_co_ci_u32 s17, s13, 0
	s_delay_alu instid0(SALU_CYCLE_1) | instskip(NEXT) | instid1(SALU_CYCLE_1)
	s_add_nc_u64 s[16:17], s[20:21], s[16:17]
	s_add_co_u32 s2, s14, s16
	s_cselect_b32 s7, -1, 0
	s_delay_alu instid0(SALU_CYCLE_1)
	s_cmp_lg_u32 s7, 0
	s_add_co_ci_u32 s20, s15, s17
	s_mov_b64 s[14:15], 0xffffffff
	v_mul_u64_e32 v[12:13], s[20:21], v[10:11]
	v_mul_hi_u32 v10, v8, s2
	s_and_b64 s[14:15], s[2:3], s[14:15]
	s_delay_alu instid0(VALU_DEP_1) | instskip(SKIP_1) | instid1(VALU_DEP_1)
	v_add_nc_u64_e32 v[12:13], v[10:11], v[12:13]
	v_mov_b32_e32 v10, v9
	v_mul_u64_e32 v[14:15], s[14:15], v[10:11]
	v_mul_u64_e32 v[18:19], s[20:21], v[10:11]
	s_delay_alu instid0(VALU_DEP_2) | instskip(NEXT) | instid1(VALU_DEP_3)
	v_add_co_u32 v1, vcc_lo, v12, v14
	v_add_co_ci_u32_e32 v10, vcc_lo, v13, v15, vcc_lo
	s_delay_alu instid0(VALU_DEP_3) | instskip(NEXT) | instid1(VALU_DEP_1)
	v_add_co_ci_u32_e32 v19, vcc_lo, 0, v19, vcc_lo
	v_add_nc_u64_e32 v[10:11], v[10:11], v[18:19]
	s_delay_alu instid0(VALU_DEP_1) | instskip(NEXT) | instid1(VALU_DEP_1)
	v_mul_u64_e32 v[10:11], s[10:11], v[10:11]
	v_sub_nc_u32_e32 v1, v9, v11
	s_delay_alu instid0(VALU_DEP_2) | instskip(NEXT) | instid1(VALU_DEP_1)
	v_sub_co_u32 v8, vcc_lo, v8, v10
	v_sub_co_ci_u32_e64 v9, null, v9, v11, vcc_lo
	s_delay_alu instid0(VALU_DEP_3) | instskip(NEXT) | instid1(VALU_DEP_3)
	v_subrev_co_ci_u32_e64 v1, null, s11, v1, vcc_lo
	v_sub_co_u32 v10, vcc_lo, v8, s10
	v_cmp_le_u32_e64 s2, s10, v8
	s_delay_alu instid0(VALU_DEP_3) | instskip(SKIP_1) | instid1(VALU_DEP_3)
	v_subrev_co_ci_u32_e64 v11, null, 0, v1, vcc_lo
	v_subrev_co_ci_u32_e64 v1, null, s11, v1, vcc_lo
	v_cndmask_b32_e64 v12, 0, -1, s2
	v_cmp_le_u32_e64 s2, s10, v10
	v_cmp_le_u32_e32 vcc_lo, s11, v9
	s_delay_alu instid0(VALU_DEP_2) | instskip(SKIP_3) | instid1(VALU_DEP_3)
	v_cndmask_b32_e64 v13, 0, -1, s2
	v_cmp_le_u32_e64 s2, s11, v11
	v_cndmask_b32_e64 v15, 0, -1, vcc_lo
	v_cmp_eq_u32_e32 vcc_lo, s11, v11
	v_cndmask_b32_e64 v14, 0, -1, s2
	v_cmp_eq_u32_e64 s2, s11, v9
	s_delay_alu instid0(VALU_DEP_1) | instskip(SKIP_1) | instid1(VALU_DEP_1)
	v_dual_cndmask_b32 v13, v14, v13, vcc_lo :: v_dual_cndmask_b32 v12, v15, v12, s2
	v_sub_co_u32 v14, vcc_lo, v10, s10
	v_subrev_co_ci_u32_e64 v1, null, 0, v1, vcc_lo
	s_delay_alu instid0(VALU_DEP_3) | instskip(NEXT) | instid1(VALU_DEP_2)
	v_cmp_ne_u32_e32 vcc_lo, 0, v13
	v_dual_cndmask_b32 v1, v11, v1 :: v_dual_cndmask_b32 v10, v10, v14
	v_cmp_ne_u32_e32 vcc_lo, 0, v12
	s_delay_alu instid0(VALU_DEP_2) | instskip(NEXT) | instid1(VALU_DEP_1)
	v_dual_cndmask_b32 v9, v9, v1 :: v_dual_cndmask_b32 v8, v8, v10
	v_sub_nc_u64_e64 v[12:13], v[8:9], 0
.LBB44_8:
	s_or_saveexec_b32 s7, s3
	s_load_b64 s[2:3], s[0:1], 0x68
	s_xor_b32 exec_lo, exec_lo, s7
	s_cbranch_execz .LBB44_10
; %bb.9:
	v_cvt_f32_u32_e32 v1, s6
	s_sub_co_i32 s10, 0, s6
	v_mov_b32_e32 v13, 0
	s_delay_alu instid0(VALU_DEP_2) | instskip(SKIP_1) | instid1(TRANS32_DEP_1)
	v_rcp_iflag_f32_e32 v1, v1
	v_nop
	v_mul_f32_e32 v1, 0x4f7ffffe, v1
	s_delay_alu instid0(VALU_DEP_1) | instskip(NEXT) | instid1(VALU_DEP_1)
	v_cvt_u32_f32_e32 v1, v1
	v_mul_lo_u32 v8, s10, v1
	s_delay_alu instid0(VALU_DEP_1) | instskip(NEXT) | instid1(VALU_DEP_1)
	v_mul_hi_u32 v8, v1, v8
	v_add_nc_u32_e32 v1, v1, v8
	s_delay_alu instid0(VALU_DEP_1) | instskip(NEXT) | instid1(VALU_DEP_1)
	v_mul_hi_u32 v1, v6, v1
	v_mul_lo_u32 v1, v1, s6
	s_delay_alu instid0(VALU_DEP_1) | instskip(NEXT) | instid1(VALU_DEP_1)
	v_sub_nc_u32_e32 v1, v6, v1
	v_subrev_nc_u32_e32 v8, s6, v1
	v_cmp_le_u32_e32 vcc_lo, s6, v1
	s_delay_alu instid0(VALU_DEP_2) | instskip(NEXT) | instid1(VALU_DEP_1)
	v_cndmask_b32_e32 v1, v1, v8, vcc_lo
	v_subrev_nc_u32_e32 v8, s6, v1
	v_cmp_le_u32_e32 vcc_lo, s6, v1
	s_delay_alu instid0(VALU_DEP_2)
	v_cndmask_b32_e32 v12, v1, v8, vcc_lo
.LBB44_10:
	s_or_b32 exec_lo, exec_lo, s7
	s_wait_kmcnt 0x0
	v_lshl_add_u64 v[8:9], v[6:7], 3, s[2:3]
	s_mov_b32 s13, 0
	global_load_b64 v[8:9], v[8:9], off
	s_wait_loadcnt 0x0
	v_sub_nc_u64_e64 v[10:11], v[8:9], s[12:13]
	s_delay_alu instid0(VALU_DEP_1)
	v_cmp_lt_i64_e32 vcc_lo, -1, v[10:11]
	s_and_b32 exec_lo, exec_lo, vcc_lo
	s_cbranch_execz .LBB44_39
; %bb.11:
	s_clause 0x1
	s_load_b128 s[12:15], s[0:1], 0x0
	s_load_b64 s[2:3], s[0:1], 0x40
	s_wait_kmcnt 0x0
	s_cmp_eq_u32 s14, 1
	s_cselect_b32 s6, -1, 0
	s_cmp_eq_u32 s12, 0x6f
	s_cselect_b32 s7, -1, 0
	s_cmp_lg_u32 s12, 0x6f
	s_cselect_b32 s10, -1, 0
	s_cmp_lg_u32 s14, 1
	s_cbranch_scc0 .LBB44_15
; %bb.12:
	v_mov_b64_e32 v[8:9], v[12:13]
	s_and_not1_b32 vcc_lo, exec_lo, s7
	s_cbranch_vccnz .LBB44_14
; %bb.13:
	v_mul_u64_e32 v[8:9], s[2:3], v[12:13]
.LBB44_14:
	s_cbranch_execz .LBB44_16
	s_branch .LBB44_19
.LBB44_15:
                                        ; implicit-def: $vgpr8_vgpr9
.LBB44_16:
	s_and_not1_b32 vcc_lo, exec_lo, s10
	s_cbranch_vccnz .LBB44_18
; %bb.17:
	v_mul_u64_e32 v[12:13], s[2:3], v[12:13]
.LBB44_18:
	s_delay_alu instid0(VALU_DEP_1)
	v_mov_b64_e32 v[8:9], v[12:13]
.LBB44_19:
	s_cmp_eq_u32 s15, 1
	s_cselect_b32 s10, -1, 0
	s_cmp_eq_u32 s13, 0x6f
	s_cselect_b32 s12, -1, 0
	s_cmp_lg_u32 s13, 0x6f
	s_cselect_b32 s11, -1, 0
	s_cmp_lg_u32 s15, 1
	s_cbranch_scc0 .LBB44_23
; %bb.20:
	v_mov_b64_e32 v[12:13], v[10:11]
	s_and_not1_b32 vcc_lo, exec_lo, s11
	s_cbranch_vccnz .LBB44_22
; %bb.21:
	v_mul_u64_e32 v[12:13], s[8:9], v[10:11]
.LBB44_22:
	s_cbranch_execz .LBB44_24
	s_branch .LBB44_27
.LBB44_23:
                                        ; implicit-def: $vgpr12_vgpr13
.LBB44_24:
	s_and_not1_b32 vcc_lo, exec_lo, s12
	s_cbranch_vccnz .LBB44_26
; %bb.25:
	v_mul_u64_e32 v[10:11], s[8:9], v[10:11]
.LBB44_26:
	s_delay_alu instid0(VALU_DEP_1)
	v_mov_b64_e32 v[12:13], v[10:11]
.LBB44_27:
	v_mov_b64_e32 v[10:11], 0
	v_dual_mov_b32 v1, 0 :: v_dual_bitop2_b32 v0, 7, v0 bitop3:0x40
	s_mov_b32 s11, exec_lo
	s_delay_alu instid0(VALU_DEP_1)
	v_cmpx_gt_i64_e64 s[4:5], v[0:1]
	s_cbranch_execz .LBB44_31
; %bb.28:
	s_xor_b32 s6, s7, s6
	v_lshlrev_b64_e32 v[8:9], 3, v[8:9]
	s_and_b32 s6, s6, exec_lo
	s_cselect_b32 s7, 0, s3
	s_cselect_b32 s6, 1, s2
	s_xor_b32 s2, s12, s10
	v_mul_u64_e32 v[10:11], s[6:7], v[0:1]
	s_and_b32 s2, s2, exec_lo
	s_cselect_b32 s3, s9, 0
	s_cselect_b32 s2, s8, 1
	s_clause 0x1
	s_load_b64 s[8:9], s[0:1], 0x38
	s_load_b64 s[12:13], s[0:1], 0x48
	v_mul_u64_e32 v[14:15], s[2:3], v[0:1]
	v_lshlrev_b64_e32 v[12:13], 3, v[12:13]
	s_lshl_b64 s[2:3], s[2:3], 6
	s_lshl_b64 s[6:7], s[6:7], 6
	s_delay_alu instid0(VALU_DEP_3) | instskip(NEXT) | instid1(VALU_DEP_2)
	v_lshl_add_u64 v[8:9], v[10:11], 3, v[8:9]
	v_lshl_add_u64 v[10:11], v[14:15], 3, v[12:13]
	s_wait_kmcnt 0x0
	s_delay_alu instid0(VALU_DEP_2)
	v_add_nc_u64_e32 v[8:9], s[8:9], v[8:9]
	v_mov_b64_e32 v[14:15], v[0:1]
	s_mov_b32 s8, 0
	v_add_nc_u64_e32 v[12:13], s[12:13], v[10:11]
	v_mov_b64_e32 v[10:11], 0
.LBB44_29:                              ; =>This Inner Loop Header: Depth=1
	global_load_b64 v[18:19], v[8:9], off
	global_load_b64 v[20:21], v[12:13], off
	v_add_nc_u64_e32 v[14:15], 8, v[14:15]
	s_wait_xcnt 0x0
	v_add_nc_u64_e32 v[12:13], s[2:3], v[12:13]
	v_add_nc_u64_e32 v[8:9], s[6:7], v[8:9]
	s_delay_alu instid0(VALU_DEP_3)
	v_cmp_le_i64_e32 vcc_lo, s[4:5], v[14:15]
	s_or_b32 s8, vcc_lo, s8
	s_wait_loadcnt 0x0
	v_fmac_f64_e32 v[10:11], v[18:19], v[20:21]
	s_and_not1_b32 exec_lo, exec_lo, s8
	s_cbranch_execnz .LBB44_29
; %bb.30:
	s_or_b32 exec_lo, exec_lo, s8
.LBB44_31:
	s_delay_alu instid0(SALU_CYCLE_1) | instskip(SKIP_3) | instid1(VALU_DEP_1)
	s_or_b32 exec_lo, exec_lo, s11
	s_load_b64 s[0:1], s[0:1], 0x60
	v_lshlrev_b32_e32 v1, 6, v16
	s_mov_b32 s2, exec_lo
	v_lshl_or_b32 v8, v0, 3, v1
	ds_store_b64 v8, v[10:11]
	s_wait_dscnt 0x0
	s_barrier_signal -1
	s_barrier_wait -1
	v_cmpx_gt_u32_e32 4, v0
	s_cbranch_execz .LBB44_33
; %bb.32:
	ds_load_2addr_b64 v[10:13], v8 offset1:4
	s_wait_dscnt 0x0
	v_add_f64_e32 v[10:11], v[12:13], v[10:11]
	ds_store_b64 v8, v[10:11]
.LBB44_33:
	s_or_b32 exec_lo, exec_lo, s2
	s_delay_alu instid0(SALU_CYCLE_1)
	s_mov_b32 s2, exec_lo
	s_wait_dscnt 0x0
	s_barrier_signal -1
	s_barrier_wait -1
	v_cmpx_gt_u32_e32 2, v0
	s_cbranch_execz .LBB44_35
; %bb.34:
	ds_load_2addr_b64 v[10:13], v8 offset1:2
	s_wait_dscnt 0x0
	v_add_f64_e32 v[10:11], v[12:13], v[10:11]
	ds_store_b64 v8, v[10:11]
.LBB44_35:
	s_or_b32 exec_lo, exec_lo, s2
	v_cmp_eq_u32_e32 vcc_lo, 0, v0
	s_wait_dscnt 0x0
	s_barrier_signal -1
	s_barrier_wait -1
	s_and_saveexec_b32 s2, vcc_lo
	s_cbranch_execz .LBB44_37
; %bb.36:
	ds_load_2addr_b64 v[10:13], v8 offset1:1
	s_wait_dscnt 0x0
	v_add_f64_e32 v[10:11], v[12:13], v[10:11]
	ds_store_b64 v8, v[10:11]
.LBB44_37:
	s_or_b32 exec_lo, exec_lo, s2
	s_wait_dscnt 0x0
	s_barrier_signal -1
	s_barrier_wait -1
	s_and_b32 exec_lo, exec_lo, vcc_lo
	s_cbranch_execz .LBB44_39
; %bb.38:
	s_wait_kmcnt 0x0
	v_lshl_add_u64 v[6:7], v[6:7], 3, s[0:1]
	ds_load_b64 v[0:1], v1
	global_load_b64 v[8:9], v[6:7], off
	s_wait_dscnt 0x0
	v_mul_f64_e32 v[0:1], v[2:3], v[0:1]
	s_wait_loadcnt 0x0
	s_delay_alu instid0(VALU_DEP_1)
	v_fmac_f64_e32 v[0:1], v[4:5], v[8:9]
	global_store_b64 v[6:7], v[0:1], off
.LBB44_39:
	s_endpgm
	.section	.rodata,"a",@progbits
	.p2align	6, 0x0
	.amdhsa_kernel _ZN9rocsparseL16sddmm_ell_kernelILi512ELi8EdlldddEEv20rocsparse_operation_S1_16rocsparse_order_S2_T3_S3_S3_T2_NS_24const_host_device_scalarIT1_EEPKT4_lPKT5_lS7_PT6_PKS3_21rocsparse_index_base_b
		.amdhsa_group_segment_fixed_size 4096
		.amdhsa_private_segment_fixed_size 0
		.amdhsa_kernarg_size 120
		.amdhsa_user_sgpr_count 2
		.amdhsa_user_sgpr_dispatch_ptr 0
		.amdhsa_user_sgpr_queue_ptr 0
		.amdhsa_user_sgpr_kernarg_segment_ptr 1
		.amdhsa_user_sgpr_dispatch_id 0
		.amdhsa_user_sgpr_kernarg_preload_length 0
		.amdhsa_user_sgpr_kernarg_preload_offset 0
		.amdhsa_user_sgpr_private_segment_size 0
		.amdhsa_wavefront_size32 1
		.amdhsa_uses_dynamic_stack 0
		.amdhsa_enable_private_segment 0
		.amdhsa_system_sgpr_workgroup_id_x 1
		.amdhsa_system_sgpr_workgroup_id_y 0
		.amdhsa_system_sgpr_workgroup_id_z 0
		.amdhsa_system_sgpr_workgroup_info 0
		.amdhsa_system_vgpr_workitem_id 0
		.amdhsa_next_free_vgpr 22
		.amdhsa_next_free_sgpr 24
		.amdhsa_named_barrier_count 0
		.amdhsa_reserve_vcc 1
		.amdhsa_float_round_mode_32 0
		.amdhsa_float_round_mode_16_64 0
		.amdhsa_float_denorm_mode_32 3
		.amdhsa_float_denorm_mode_16_64 3
		.amdhsa_fp16_overflow 0
		.amdhsa_memory_ordered 1
		.amdhsa_forward_progress 1
		.amdhsa_inst_pref_size 14
		.amdhsa_round_robin_scheduling 0
		.amdhsa_exception_fp_ieee_invalid_op 0
		.amdhsa_exception_fp_denorm_src 0
		.amdhsa_exception_fp_ieee_div_zero 0
		.amdhsa_exception_fp_ieee_overflow 0
		.amdhsa_exception_fp_ieee_underflow 0
		.amdhsa_exception_fp_ieee_inexact 0
		.amdhsa_exception_int_div_zero 0
	.end_amdhsa_kernel
	.section	.text._ZN9rocsparseL16sddmm_ell_kernelILi512ELi8EdlldddEEv20rocsparse_operation_S1_16rocsparse_order_S2_T3_S3_S3_T2_NS_24const_host_device_scalarIT1_EEPKT4_lPKT5_lS7_PT6_PKS3_21rocsparse_index_base_b,"axG",@progbits,_ZN9rocsparseL16sddmm_ell_kernelILi512ELi8EdlldddEEv20rocsparse_operation_S1_16rocsparse_order_S2_T3_S3_S3_T2_NS_24const_host_device_scalarIT1_EEPKT4_lPKT5_lS7_PT6_PKS3_21rocsparse_index_base_b,comdat
.Lfunc_end44:
	.size	_ZN9rocsparseL16sddmm_ell_kernelILi512ELi8EdlldddEEv20rocsparse_operation_S1_16rocsparse_order_S2_T3_S3_S3_T2_NS_24const_host_device_scalarIT1_EEPKT4_lPKT5_lS7_PT6_PKS3_21rocsparse_index_base_b, .Lfunc_end44-_ZN9rocsparseL16sddmm_ell_kernelILi512ELi8EdlldddEEv20rocsparse_operation_S1_16rocsparse_order_S2_T3_S3_S3_T2_NS_24const_host_device_scalarIT1_EEPKT4_lPKT5_lS7_PT6_PKS3_21rocsparse_index_base_b
                                        ; -- End function
	.set _ZN9rocsparseL16sddmm_ell_kernelILi512ELi8EdlldddEEv20rocsparse_operation_S1_16rocsparse_order_S2_T3_S3_S3_T2_NS_24const_host_device_scalarIT1_EEPKT4_lPKT5_lS7_PT6_PKS3_21rocsparse_index_base_b.num_vgpr, 22
	.set _ZN9rocsparseL16sddmm_ell_kernelILi512ELi8EdlldddEEv20rocsparse_operation_S1_16rocsparse_order_S2_T3_S3_S3_T2_NS_24const_host_device_scalarIT1_EEPKT4_lPKT5_lS7_PT6_PKS3_21rocsparse_index_base_b.num_agpr, 0
	.set _ZN9rocsparseL16sddmm_ell_kernelILi512ELi8EdlldddEEv20rocsparse_operation_S1_16rocsparse_order_S2_T3_S3_S3_T2_NS_24const_host_device_scalarIT1_EEPKT4_lPKT5_lS7_PT6_PKS3_21rocsparse_index_base_b.numbered_sgpr, 24
	.set _ZN9rocsparseL16sddmm_ell_kernelILi512ELi8EdlldddEEv20rocsparse_operation_S1_16rocsparse_order_S2_T3_S3_S3_T2_NS_24const_host_device_scalarIT1_EEPKT4_lPKT5_lS7_PT6_PKS3_21rocsparse_index_base_b.num_named_barrier, 0
	.set _ZN9rocsparseL16sddmm_ell_kernelILi512ELi8EdlldddEEv20rocsparse_operation_S1_16rocsparse_order_S2_T3_S3_S3_T2_NS_24const_host_device_scalarIT1_EEPKT4_lPKT5_lS7_PT6_PKS3_21rocsparse_index_base_b.private_seg_size, 0
	.set _ZN9rocsparseL16sddmm_ell_kernelILi512ELi8EdlldddEEv20rocsparse_operation_S1_16rocsparse_order_S2_T3_S3_S3_T2_NS_24const_host_device_scalarIT1_EEPKT4_lPKT5_lS7_PT6_PKS3_21rocsparse_index_base_b.uses_vcc, 1
	.set _ZN9rocsparseL16sddmm_ell_kernelILi512ELi8EdlldddEEv20rocsparse_operation_S1_16rocsparse_order_S2_T3_S3_S3_T2_NS_24const_host_device_scalarIT1_EEPKT4_lPKT5_lS7_PT6_PKS3_21rocsparse_index_base_b.uses_flat_scratch, 0
	.set _ZN9rocsparseL16sddmm_ell_kernelILi512ELi8EdlldddEEv20rocsparse_operation_S1_16rocsparse_order_S2_T3_S3_S3_T2_NS_24const_host_device_scalarIT1_EEPKT4_lPKT5_lS7_PT6_PKS3_21rocsparse_index_base_b.has_dyn_sized_stack, 0
	.set _ZN9rocsparseL16sddmm_ell_kernelILi512ELi8EdlldddEEv20rocsparse_operation_S1_16rocsparse_order_S2_T3_S3_S3_T2_NS_24const_host_device_scalarIT1_EEPKT4_lPKT5_lS7_PT6_PKS3_21rocsparse_index_base_b.has_recursion, 0
	.set _ZN9rocsparseL16sddmm_ell_kernelILi512ELi8EdlldddEEv20rocsparse_operation_S1_16rocsparse_order_S2_T3_S3_S3_T2_NS_24const_host_device_scalarIT1_EEPKT4_lPKT5_lS7_PT6_PKS3_21rocsparse_index_base_b.has_indirect_call, 0
	.section	.AMDGPU.csdata,"",@progbits
; Kernel info:
; codeLenInByte = 1752
; TotalNumSgprs: 26
; NumVgprs: 22
; ScratchSize: 0
; MemoryBound: 0
; FloatMode: 240
; IeeeMode: 1
; LDSByteSize: 4096 bytes/workgroup (compile time only)
; SGPRBlocks: 0
; VGPRBlocks: 1
; NumSGPRsForWavesPerEU: 26
; NumVGPRsForWavesPerEU: 22
; NamedBarCnt: 0
; Occupancy: 16
; WaveLimiterHint : 0
; COMPUTE_PGM_RSRC2:SCRATCH_EN: 0
; COMPUTE_PGM_RSRC2:USER_SGPR: 2
; COMPUTE_PGM_RSRC2:TRAP_HANDLER: 0
; COMPUTE_PGM_RSRC2:TGID_X_EN: 1
; COMPUTE_PGM_RSRC2:TGID_Y_EN: 0
; COMPUTE_PGM_RSRC2:TGID_Z_EN: 0
; COMPUTE_PGM_RSRC2:TIDIG_COMP_CNT: 0
	.section	.text._ZN9rocsparseL16sddmm_ell_kernelILi512ELi4EdlldddEEv20rocsparse_operation_S1_16rocsparse_order_S2_T3_S3_S3_T2_NS_24const_host_device_scalarIT1_EEPKT4_lPKT5_lS7_PT6_PKS3_21rocsparse_index_base_b,"axG",@progbits,_ZN9rocsparseL16sddmm_ell_kernelILi512ELi4EdlldddEEv20rocsparse_operation_S1_16rocsparse_order_S2_T3_S3_S3_T2_NS_24const_host_device_scalarIT1_EEPKT4_lPKT5_lS7_PT6_PKS3_21rocsparse_index_base_b,comdat
	.globl	_ZN9rocsparseL16sddmm_ell_kernelILi512ELi4EdlldddEEv20rocsparse_operation_S1_16rocsparse_order_S2_T3_S3_S3_T2_NS_24const_host_device_scalarIT1_EEPKT4_lPKT5_lS7_PT6_PKS3_21rocsparse_index_base_b ; -- Begin function _ZN9rocsparseL16sddmm_ell_kernelILi512ELi4EdlldddEEv20rocsparse_operation_S1_16rocsparse_order_S2_T3_S3_S3_T2_NS_24const_host_device_scalarIT1_EEPKT4_lPKT5_lS7_PT6_PKS3_21rocsparse_index_base_b
	.p2align	8
	.type	_ZN9rocsparseL16sddmm_ell_kernelILi512ELi4EdlldddEEv20rocsparse_operation_S1_16rocsparse_order_S2_T3_S3_S3_T2_NS_24const_host_device_scalarIT1_EEPKT4_lPKT5_lS7_PT6_PKS3_21rocsparse_index_base_b,@function
_ZN9rocsparseL16sddmm_ell_kernelILi512ELi4EdlldddEEv20rocsparse_operation_S1_16rocsparse_order_S2_T3_S3_S3_T2_NS_24const_host_device_scalarIT1_EEPKT4_lPKT5_lS7_PT6_PKS3_21rocsparse_index_base_b: ; @_ZN9rocsparseL16sddmm_ell_kernelILi512ELi4EdlldddEEv20rocsparse_operation_S1_16rocsparse_order_S2_T3_S3_S3_T2_NS_24const_host_device_scalarIT1_EEPKT4_lPKT5_lS7_PT6_PKS3_21rocsparse_index_base_b
; %bb.0:
	s_clause 0x2
	s_load_b64 s[12:13], s[0:1], 0x70
	s_load_b64 s[2:3], s[0:1], 0x30
	s_load_b128 s[8:11], s[0:1], 0x50
	s_wait_kmcnt 0x0
	s_bitcmp1_b32 s13, 0
	v_mov_b64_e32 v[2:3], s[2:3]
	s_cselect_b32 s4, -1, 0
	s_delay_alu instid0(SALU_CYCLE_1)
	s_and_b32 vcc_lo, exec_lo, s4
	s_xor_b32 s4, s4, -1
	s_cbranch_vccnz .LBB45_2
; %bb.1:
	v_mov_b32_e32 v1, 0
	flat_load_b64 v[2:3], v1, s[2:3]
.LBB45_2:
	v_mov_b64_e32 v[4:5], s[10:11]
	s_and_not1_b32 vcc_lo, exec_lo, s4
	s_cbranch_vccnz .LBB45_4
; %bb.3:
	s_wait_xcnt 0x0
	v_mov_b32_e32 v1, 0
	flat_load_b64 v[4:5], v1, s[10:11]
.LBB45_4:
	s_wait_loadcnt_dscnt 0x0
	v_cmp_neq_f64_e32 vcc_lo, 0, v[2:3]
	s_delay_alu instid0(VALU_DEP_2) | instskip(SKIP_1) | instid1(SALU_CYCLE_1)
	v_cmp_neq_f64_e64 s2, 1.0, v[4:5]
	s_or_b32 s2, vcc_lo, s2
	s_and_saveexec_b32 s3, s2
	s_cbranch_execz .LBB45_37
; %bb.5:
	s_load_b128 s[4:7], s[0:1], 0x20
	s_bfe_u32 s2, ttmp6, 0x4000c
	s_and_b32 s3, ttmp6, 15
	s_add_co_i32 s2, s2, 1
	s_getreg_b32 s10, hwreg(HW_REG_IB_STS2, 6, 4)
	s_mul_i32 s2, ttmp9, s2
	v_dual_mov_b32 v7, 0 :: v_dual_lshrrev_b32 v16, 2, v0
	s_add_co_i32 s3, s3, s2
	s_cmp_eq_u32 s10, 0
	s_cselect_b32 s2, ttmp9, s3
	s_delay_alu instid0(VALU_DEP_1) | instid1(SALU_CYCLE_1)
	v_lshl_or_b32 v6, s2, 7, v16
	s_wait_kmcnt 0x0
	s_delay_alu instid0(VALU_DEP_1)
	v_cmp_gt_i64_e32 vcc_lo, s[6:7], v[6:7]
	s_and_b32 exec_lo, exec_lo, vcc_lo
	s_cbranch_execz .LBB45_37
; %bb.6:
	s_load_b64 s[6:7], s[0:1], 0x10
                                        ; implicit-def: $vgpr12_vgpr13
	s_wait_kmcnt 0x0
	s_and_b64 s[2:3], s[6:7], 0xffffffff00000000
	s_delay_alu instid0(SALU_CYCLE_1) | instskip(SKIP_1) | instid1(SALU_CYCLE_1)
	s_cmp_lg_u64 s[2:3], 0
	s_cselect_b32 s2, -1, 0
	s_and_saveexec_b32 s3, s2
	s_delay_alu instid0(SALU_CYCLE_1)
	s_xor_b32 s3, exec_lo, s3
	s_cbranch_execz .LBB45_8
; %bb.7:
	s_ashr_i32 s10, s7, 31
	s_mov_b32 s21, 0
	s_mov_b32 s11, s10
	v_add_nc_u64_e32 v[8:9], 0, v[6:7]
	s_add_nc_u64 s[14:15], s[6:7], s[10:11]
	v_mov_b32_e32 v11, 0
	s_xor_b64 s[10:11], s[14:15], s[10:11]
	s_delay_alu instid0(SALU_CYCLE_1) | instskip(SKIP_3) | instid1(SALU_CYCLE_1)
	s_cvt_f32_u32 s2, s10
	s_cvt_f32_u32 s7, s11
	s_sub_nc_u64 s[16:17], 0, s[10:11]
	v_mov_b32_e32 v10, v8
	s_fmamk_f32 s2, s7, 0x4f800000, s2
	s_delay_alu instid0(SALU_CYCLE_3) | instskip(NEXT) | instid1(TRANS32_DEP_1)
	v_s_rcp_f32 s2, s2
	s_mul_f32 s2, s2, 0x5f7ffffc
	s_delay_alu instid0(SALU_CYCLE_3) | instskip(NEXT) | instid1(SALU_CYCLE_3)
	s_mul_f32 s7, s2, 0x2f800000
	s_trunc_f32 s7, s7
	s_delay_alu instid0(SALU_CYCLE_3) | instskip(SKIP_1) | instid1(SALU_CYCLE_2)
	s_fmamk_f32 s2, s7, 0xcf800000, s2
	s_cvt_u32_f32 s15, s7
	s_cvt_u32_f32 s14, s2
	s_delay_alu instid0(SALU_CYCLE_3) | instskip(NEXT) | instid1(SALU_CYCLE_1)
	s_mul_u64 s[18:19], s[16:17], s[14:15]
	s_mul_hi_u32 s23, s14, s19
	s_mul_i32 s22, s14, s19
	s_mul_hi_u32 s20, s14, s18
	s_mul_i32 s7, s15, s18
	s_add_nc_u64 s[22:23], s[20:21], s[22:23]
	s_mul_hi_u32 s2, s15, s18
	s_mul_hi_u32 s13, s15, s19
	s_add_co_u32 s7, s22, s7
	s_add_co_ci_u32 s20, s23, s2
	s_mul_i32 s18, s15, s19
	s_add_co_ci_u32 s19, s13, 0
	s_delay_alu instid0(SALU_CYCLE_1) | instskip(NEXT) | instid1(SALU_CYCLE_1)
	s_add_nc_u64 s[18:19], s[20:21], s[18:19]
	s_add_co_u32 s14, s14, s18
	s_cselect_b32 s2, -1, 0
	s_delay_alu instid0(SALU_CYCLE_1) | instskip(SKIP_1) | instid1(SALU_CYCLE_1)
	s_cmp_lg_u32 s2, 0
	s_add_co_ci_u32 s15, s15, s19
	s_mul_u64 s[16:17], s[16:17], s[14:15]
	s_delay_alu instid0(SALU_CYCLE_1)
	s_mul_hi_u32 s19, s14, s17
	s_mul_i32 s18, s14, s17
	s_mul_hi_u32 s20, s14, s16
	s_mul_i32 s7, s15, s16
	s_add_nc_u64 s[18:19], s[20:21], s[18:19]
	s_mul_hi_u32 s2, s15, s16
	s_mul_hi_u32 s13, s15, s17
	s_add_co_u32 s7, s18, s7
	s_add_co_ci_u32 s20, s19, s2
	s_mul_i32 s16, s15, s17
	s_add_co_ci_u32 s17, s13, 0
	s_delay_alu instid0(SALU_CYCLE_1) | instskip(NEXT) | instid1(SALU_CYCLE_1)
	s_add_nc_u64 s[16:17], s[20:21], s[16:17]
	s_add_co_u32 s2, s14, s16
	s_cselect_b32 s7, -1, 0
	s_delay_alu instid0(SALU_CYCLE_1)
	s_cmp_lg_u32 s7, 0
	s_add_co_ci_u32 s20, s15, s17
	s_mov_b64 s[14:15], 0xffffffff
	v_mul_u64_e32 v[12:13], s[20:21], v[10:11]
	v_mul_hi_u32 v10, v8, s2
	s_and_b64 s[14:15], s[2:3], s[14:15]
	s_delay_alu instid0(VALU_DEP_1) | instskip(SKIP_1) | instid1(VALU_DEP_1)
	v_add_nc_u64_e32 v[12:13], v[10:11], v[12:13]
	v_mov_b32_e32 v10, v9
	v_mul_u64_e32 v[14:15], s[14:15], v[10:11]
	v_mul_u64_e32 v[18:19], s[20:21], v[10:11]
	s_delay_alu instid0(VALU_DEP_2) | instskip(NEXT) | instid1(VALU_DEP_3)
	v_add_co_u32 v1, vcc_lo, v12, v14
	v_add_co_ci_u32_e32 v10, vcc_lo, v13, v15, vcc_lo
	s_delay_alu instid0(VALU_DEP_3) | instskip(NEXT) | instid1(VALU_DEP_1)
	v_add_co_ci_u32_e32 v19, vcc_lo, 0, v19, vcc_lo
	v_add_nc_u64_e32 v[10:11], v[10:11], v[18:19]
	s_delay_alu instid0(VALU_DEP_1) | instskip(NEXT) | instid1(VALU_DEP_1)
	v_mul_u64_e32 v[10:11], s[10:11], v[10:11]
	v_sub_nc_u32_e32 v1, v9, v11
	s_delay_alu instid0(VALU_DEP_2) | instskip(NEXT) | instid1(VALU_DEP_1)
	v_sub_co_u32 v8, vcc_lo, v8, v10
	v_sub_co_ci_u32_e64 v9, null, v9, v11, vcc_lo
	s_delay_alu instid0(VALU_DEP_3) | instskip(NEXT) | instid1(VALU_DEP_3)
	v_subrev_co_ci_u32_e64 v1, null, s11, v1, vcc_lo
	v_sub_co_u32 v10, vcc_lo, v8, s10
	v_cmp_le_u32_e64 s2, s10, v8
	s_delay_alu instid0(VALU_DEP_3) | instskip(SKIP_1) | instid1(VALU_DEP_3)
	v_subrev_co_ci_u32_e64 v11, null, 0, v1, vcc_lo
	v_subrev_co_ci_u32_e64 v1, null, s11, v1, vcc_lo
	v_cndmask_b32_e64 v12, 0, -1, s2
	v_cmp_le_u32_e64 s2, s10, v10
	v_cmp_le_u32_e32 vcc_lo, s11, v9
	s_delay_alu instid0(VALU_DEP_2) | instskip(SKIP_3) | instid1(VALU_DEP_3)
	v_cndmask_b32_e64 v13, 0, -1, s2
	v_cmp_le_u32_e64 s2, s11, v11
	v_cndmask_b32_e64 v15, 0, -1, vcc_lo
	v_cmp_eq_u32_e32 vcc_lo, s11, v11
	v_cndmask_b32_e64 v14, 0, -1, s2
	v_cmp_eq_u32_e64 s2, s11, v9
	s_delay_alu instid0(VALU_DEP_1) | instskip(SKIP_1) | instid1(VALU_DEP_1)
	v_dual_cndmask_b32 v13, v14, v13, vcc_lo :: v_dual_cndmask_b32 v12, v15, v12, s2
	v_sub_co_u32 v14, vcc_lo, v10, s10
	v_subrev_co_ci_u32_e64 v1, null, 0, v1, vcc_lo
	s_delay_alu instid0(VALU_DEP_3) | instskip(NEXT) | instid1(VALU_DEP_2)
	v_cmp_ne_u32_e32 vcc_lo, 0, v13
	v_dual_cndmask_b32 v1, v11, v1 :: v_dual_cndmask_b32 v10, v10, v14
	v_cmp_ne_u32_e32 vcc_lo, 0, v12
	s_delay_alu instid0(VALU_DEP_2) | instskip(NEXT) | instid1(VALU_DEP_1)
	v_dual_cndmask_b32 v9, v9, v1 :: v_dual_cndmask_b32 v8, v8, v10
	v_sub_nc_u64_e64 v[12:13], v[8:9], 0
.LBB45_8:
	s_or_saveexec_b32 s7, s3
	s_load_b64 s[2:3], s[0:1], 0x68
	s_xor_b32 exec_lo, exec_lo, s7
	s_cbranch_execz .LBB45_10
; %bb.9:
	v_cvt_f32_u32_e32 v1, s6
	s_sub_co_i32 s10, 0, s6
	v_mov_b32_e32 v13, 0
	s_delay_alu instid0(VALU_DEP_2) | instskip(SKIP_1) | instid1(TRANS32_DEP_1)
	v_rcp_iflag_f32_e32 v1, v1
	v_nop
	v_mul_f32_e32 v1, 0x4f7ffffe, v1
	s_delay_alu instid0(VALU_DEP_1) | instskip(NEXT) | instid1(VALU_DEP_1)
	v_cvt_u32_f32_e32 v1, v1
	v_mul_lo_u32 v8, s10, v1
	s_delay_alu instid0(VALU_DEP_1) | instskip(NEXT) | instid1(VALU_DEP_1)
	v_mul_hi_u32 v8, v1, v8
	v_add_nc_u32_e32 v1, v1, v8
	s_delay_alu instid0(VALU_DEP_1) | instskip(NEXT) | instid1(VALU_DEP_1)
	v_mul_hi_u32 v1, v6, v1
	v_mul_lo_u32 v1, v1, s6
	s_delay_alu instid0(VALU_DEP_1) | instskip(NEXT) | instid1(VALU_DEP_1)
	v_sub_nc_u32_e32 v1, v6, v1
	v_subrev_nc_u32_e32 v8, s6, v1
	v_cmp_le_u32_e32 vcc_lo, s6, v1
	s_delay_alu instid0(VALU_DEP_2) | instskip(NEXT) | instid1(VALU_DEP_1)
	v_cndmask_b32_e32 v1, v1, v8, vcc_lo
	v_subrev_nc_u32_e32 v8, s6, v1
	v_cmp_le_u32_e32 vcc_lo, s6, v1
	s_delay_alu instid0(VALU_DEP_2)
	v_cndmask_b32_e32 v12, v1, v8, vcc_lo
.LBB45_10:
	s_or_b32 exec_lo, exec_lo, s7
	s_wait_kmcnt 0x0
	v_lshl_add_u64 v[8:9], v[6:7], 3, s[2:3]
	s_mov_b32 s13, 0
	global_load_b64 v[8:9], v[8:9], off
	s_wait_loadcnt 0x0
	v_sub_nc_u64_e64 v[10:11], v[8:9], s[12:13]
	s_delay_alu instid0(VALU_DEP_1)
	v_cmp_lt_i64_e32 vcc_lo, -1, v[10:11]
	s_and_b32 exec_lo, exec_lo, vcc_lo
	s_cbranch_execz .LBB45_37
; %bb.11:
	s_clause 0x1
	s_load_b128 s[12:15], s[0:1], 0x0
	s_load_b64 s[2:3], s[0:1], 0x40
	s_wait_kmcnt 0x0
	s_cmp_eq_u32 s14, 1
	s_cselect_b32 s6, -1, 0
	s_cmp_eq_u32 s12, 0x6f
	s_cselect_b32 s7, -1, 0
	s_cmp_lg_u32 s12, 0x6f
	s_cselect_b32 s10, -1, 0
	s_cmp_lg_u32 s14, 1
	s_cbranch_scc0 .LBB45_15
; %bb.12:
	v_mov_b64_e32 v[8:9], v[12:13]
	s_and_not1_b32 vcc_lo, exec_lo, s7
	s_cbranch_vccnz .LBB45_14
; %bb.13:
	v_mul_u64_e32 v[8:9], s[2:3], v[12:13]
.LBB45_14:
	s_cbranch_execz .LBB45_16
	s_branch .LBB45_19
.LBB45_15:
                                        ; implicit-def: $vgpr8_vgpr9
.LBB45_16:
	s_and_not1_b32 vcc_lo, exec_lo, s10
	s_cbranch_vccnz .LBB45_18
; %bb.17:
	v_mul_u64_e32 v[12:13], s[2:3], v[12:13]
.LBB45_18:
	s_delay_alu instid0(VALU_DEP_1)
	v_mov_b64_e32 v[8:9], v[12:13]
.LBB45_19:
	s_cmp_eq_u32 s15, 1
	s_cselect_b32 s10, -1, 0
	s_cmp_eq_u32 s13, 0x6f
	s_cselect_b32 s12, -1, 0
	s_cmp_lg_u32 s13, 0x6f
	s_cselect_b32 s11, -1, 0
	s_cmp_lg_u32 s15, 1
	s_cbranch_scc0 .LBB45_23
; %bb.20:
	v_mov_b64_e32 v[12:13], v[10:11]
	s_and_not1_b32 vcc_lo, exec_lo, s11
	s_cbranch_vccnz .LBB45_22
; %bb.21:
	v_mul_u64_e32 v[12:13], s[8:9], v[10:11]
.LBB45_22:
	s_cbranch_execz .LBB45_24
	s_branch .LBB45_27
.LBB45_23:
                                        ; implicit-def: $vgpr12_vgpr13
.LBB45_24:
	s_and_not1_b32 vcc_lo, exec_lo, s12
	s_cbranch_vccnz .LBB45_26
; %bb.25:
	v_mul_u64_e32 v[10:11], s[8:9], v[10:11]
.LBB45_26:
	s_delay_alu instid0(VALU_DEP_1)
	v_mov_b64_e32 v[12:13], v[10:11]
.LBB45_27:
	v_mov_b64_e32 v[10:11], 0
	v_dual_mov_b32 v1, 0 :: v_dual_bitop2_b32 v0, 3, v0 bitop3:0x40
	s_mov_b32 s11, exec_lo
	s_delay_alu instid0(VALU_DEP_1)
	v_cmpx_gt_i64_e64 s[4:5], v[0:1]
	s_cbranch_execz .LBB45_31
; %bb.28:
	s_xor_b32 s6, s7, s6
	v_lshlrev_b64_e32 v[8:9], 3, v[8:9]
	s_and_b32 s6, s6, exec_lo
	s_cselect_b32 s7, 0, s3
	s_cselect_b32 s6, 1, s2
	s_xor_b32 s2, s12, s10
	v_mul_u64_e32 v[10:11], s[6:7], v[0:1]
	s_and_b32 s2, s2, exec_lo
	s_cselect_b32 s3, s9, 0
	s_cselect_b32 s2, s8, 1
	s_clause 0x1
	s_load_b64 s[8:9], s[0:1], 0x38
	s_load_b64 s[12:13], s[0:1], 0x48
	v_mul_u64_e32 v[14:15], s[2:3], v[0:1]
	v_lshlrev_b64_e32 v[12:13], 3, v[12:13]
	s_lshl_b64 s[2:3], s[2:3], 5
	s_lshl_b64 s[6:7], s[6:7], 5
	s_delay_alu instid0(VALU_DEP_3) | instskip(NEXT) | instid1(VALU_DEP_2)
	v_lshl_add_u64 v[8:9], v[10:11], 3, v[8:9]
	v_lshl_add_u64 v[10:11], v[14:15], 3, v[12:13]
	s_wait_kmcnt 0x0
	s_delay_alu instid0(VALU_DEP_2)
	v_add_nc_u64_e32 v[8:9], s[8:9], v[8:9]
	v_mov_b64_e32 v[14:15], v[0:1]
	s_mov_b32 s8, 0
	v_add_nc_u64_e32 v[12:13], s[12:13], v[10:11]
	v_mov_b64_e32 v[10:11], 0
.LBB45_29:                              ; =>This Inner Loop Header: Depth=1
	global_load_b64 v[18:19], v[8:9], off
	global_load_b64 v[20:21], v[12:13], off
	v_add_nc_u64_e32 v[14:15], 4, v[14:15]
	s_wait_xcnt 0x0
	v_add_nc_u64_e32 v[12:13], s[2:3], v[12:13]
	v_add_nc_u64_e32 v[8:9], s[6:7], v[8:9]
	s_delay_alu instid0(VALU_DEP_3)
	v_cmp_le_i64_e32 vcc_lo, s[4:5], v[14:15]
	s_or_b32 s8, vcc_lo, s8
	s_wait_loadcnt 0x0
	v_fmac_f64_e32 v[10:11], v[18:19], v[20:21]
	s_and_not1_b32 exec_lo, exec_lo, s8
	s_cbranch_execnz .LBB45_29
; %bb.30:
	s_or_b32 exec_lo, exec_lo, s8
.LBB45_31:
	s_delay_alu instid0(SALU_CYCLE_1) | instskip(SKIP_3) | instid1(VALU_DEP_1)
	s_or_b32 exec_lo, exec_lo, s11
	s_load_b64 s[0:1], s[0:1], 0x60
	v_lshlrev_b32_e32 v1, 5, v16
	s_mov_b32 s2, exec_lo
	v_lshl_or_b32 v8, v0, 3, v1
	ds_store_b64 v8, v[10:11]
	s_wait_dscnt 0x0
	s_barrier_signal -1
	s_barrier_wait -1
	v_cmpx_gt_u32_e32 2, v0
	s_cbranch_execz .LBB45_33
; %bb.32:
	ds_load_2addr_b64 v[10:13], v8 offset1:2
	s_wait_dscnt 0x0
	v_add_f64_e32 v[10:11], v[12:13], v[10:11]
	ds_store_b64 v8, v[10:11]
.LBB45_33:
	s_or_b32 exec_lo, exec_lo, s2
	v_cmp_eq_u32_e32 vcc_lo, 0, v0
	s_wait_dscnt 0x0
	s_barrier_signal -1
	s_barrier_wait -1
	s_and_saveexec_b32 s2, vcc_lo
	s_cbranch_execz .LBB45_35
; %bb.34:
	ds_load_2addr_b64 v[10:13], v8 offset1:1
	s_wait_dscnt 0x0
	v_add_f64_e32 v[10:11], v[12:13], v[10:11]
	ds_store_b64 v8, v[10:11]
.LBB45_35:
	s_or_b32 exec_lo, exec_lo, s2
	s_wait_dscnt 0x0
	s_barrier_signal -1
	s_barrier_wait -1
	s_and_b32 exec_lo, exec_lo, vcc_lo
	s_cbranch_execz .LBB45_37
; %bb.36:
	s_wait_kmcnt 0x0
	v_lshl_add_u64 v[6:7], v[6:7], 3, s[0:1]
	ds_load_b64 v[0:1], v1
	global_load_b64 v[8:9], v[6:7], off
	s_wait_dscnt 0x0
	v_mul_f64_e32 v[0:1], v[2:3], v[0:1]
	s_wait_loadcnt 0x0
	s_delay_alu instid0(VALU_DEP_1)
	v_fmac_f64_e32 v[0:1], v[4:5], v[8:9]
	global_store_b64 v[6:7], v[0:1], off
.LBB45_37:
	s_endpgm
	.section	.rodata,"a",@progbits
	.p2align	6, 0x0
	.amdhsa_kernel _ZN9rocsparseL16sddmm_ell_kernelILi512ELi4EdlldddEEv20rocsparse_operation_S1_16rocsparse_order_S2_T3_S3_S3_T2_NS_24const_host_device_scalarIT1_EEPKT4_lPKT5_lS7_PT6_PKS3_21rocsparse_index_base_b
		.amdhsa_group_segment_fixed_size 4096
		.amdhsa_private_segment_fixed_size 0
		.amdhsa_kernarg_size 120
		.amdhsa_user_sgpr_count 2
		.amdhsa_user_sgpr_dispatch_ptr 0
		.amdhsa_user_sgpr_queue_ptr 0
		.amdhsa_user_sgpr_kernarg_segment_ptr 1
		.amdhsa_user_sgpr_dispatch_id 0
		.amdhsa_user_sgpr_kernarg_preload_length 0
		.amdhsa_user_sgpr_kernarg_preload_offset 0
		.amdhsa_user_sgpr_private_segment_size 0
		.amdhsa_wavefront_size32 1
		.amdhsa_uses_dynamic_stack 0
		.amdhsa_enable_private_segment 0
		.amdhsa_system_sgpr_workgroup_id_x 1
		.amdhsa_system_sgpr_workgroup_id_y 0
		.amdhsa_system_sgpr_workgroup_id_z 0
		.amdhsa_system_sgpr_workgroup_info 0
		.amdhsa_system_vgpr_workitem_id 0
		.amdhsa_next_free_vgpr 22
		.amdhsa_next_free_sgpr 24
		.amdhsa_named_barrier_count 0
		.amdhsa_reserve_vcc 1
		.amdhsa_float_round_mode_32 0
		.amdhsa_float_round_mode_16_64 0
		.amdhsa_float_denorm_mode_32 3
		.amdhsa_float_denorm_mode_16_64 3
		.amdhsa_fp16_overflow 0
		.amdhsa_memory_ordered 1
		.amdhsa_forward_progress 1
		.amdhsa_inst_pref_size 14
		.amdhsa_round_robin_scheduling 0
		.amdhsa_exception_fp_ieee_invalid_op 0
		.amdhsa_exception_fp_denorm_src 0
		.amdhsa_exception_fp_ieee_div_zero 0
		.amdhsa_exception_fp_ieee_overflow 0
		.amdhsa_exception_fp_ieee_underflow 0
		.amdhsa_exception_fp_ieee_inexact 0
		.amdhsa_exception_int_div_zero 0
	.end_amdhsa_kernel
	.section	.text._ZN9rocsparseL16sddmm_ell_kernelILi512ELi4EdlldddEEv20rocsparse_operation_S1_16rocsparse_order_S2_T3_S3_S3_T2_NS_24const_host_device_scalarIT1_EEPKT4_lPKT5_lS7_PT6_PKS3_21rocsparse_index_base_b,"axG",@progbits,_ZN9rocsparseL16sddmm_ell_kernelILi512ELi4EdlldddEEv20rocsparse_operation_S1_16rocsparse_order_S2_T3_S3_S3_T2_NS_24const_host_device_scalarIT1_EEPKT4_lPKT5_lS7_PT6_PKS3_21rocsparse_index_base_b,comdat
.Lfunc_end45:
	.size	_ZN9rocsparseL16sddmm_ell_kernelILi512ELi4EdlldddEEv20rocsparse_operation_S1_16rocsparse_order_S2_T3_S3_S3_T2_NS_24const_host_device_scalarIT1_EEPKT4_lPKT5_lS7_PT6_PKS3_21rocsparse_index_base_b, .Lfunc_end45-_ZN9rocsparseL16sddmm_ell_kernelILi512ELi4EdlldddEEv20rocsparse_operation_S1_16rocsparse_order_S2_T3_S3_S3_T2_NS_24const_host_device_scalarIT1_EEPKT4_lPKT5_lS7_PT6_PKS3_21rocsparse_index_base_b
                                        ; -- End function
	.set _ZN9rocsparseL16sddmm_ell_kernelILi512ELi4EdlldddEEv20rocsparse_operation_S1_16rocsparse_order_S2_T3_S3_S3_T2_NS_24const_host_device_scalarIT1_EEPKT4_lPKT5_lS7_PT6_PKS3_21rocsparse_index_base_b.num_vgpr, 22
	.set _ZN9rocsparseL16sddmm_ell_kernelILi512ELi4EdlldddEEv20rocsparse_operation_S1_16rocsparse_order_S2_T3_S3_S3_T2_NS_24const_host_device_scalarIT1_EEPKT4_lPKT5_lS7_PT6_PKS3_21rocsparse_index_base_b.num_agpr, 0
	.set _ZN9rocsparseL16sddmm_ell_kernelILi512ELi4EdlldddEEv20rocsparse_operation_S1_16rocsparse_order_S2_T3_S3_S3_T2_NS_24const_host_device_scalarIT1_EEPKT4_lPKT5_lS7_PT6_PKS3_21rocsparse_index_base_b.numbered_sgpr, 24
	.set _ZN9rocsparseL16sddmm_ell_kernelILi512ELi4EdlldddEEv20rocsparse_operation_S1_16rocsparse_order_S2_T3_S3_S3_T2_NS_24const_host_device_scalarIT1_EEPKT4_lPKT5_lS7_PT6_PKS3_21rocsparse_index_base_b.num_named_barrier, 0
	.set _ZN9rocsparseL16sddmm_ell_kernelILi512ELi4EdlldddEEv20rocsparse_operation_S1_16rocsparse_order_S2_T3_S3_S3_T2_NS_24const_host_device_scalarIT1_EEPKT4_lPKT5_lS7_PT6_PKS3_21rocsparse_index_base_b.private_seg_size, 0
	.set _ZN9rocsparseL16sddmm_ell_kernelILi512ELi4EdlldddEEv20rocsparse_operation_S1_16rocsparse_order_S2_T3_S3_S3_T2_NS_24const_host_device_scalarIT1_EEPKT4_lPKT5_lS7_PT6_PKS3_21rocsparse_index_base_b.uses_vcc, 1
	.set _ZN9rocsparseL16sddmm_ell_kernelILi512ELi4EdlldddEEv20rocsparse_operation_S1_16rocsparse_order_S2_T3_S3_S3_T2_NS_24const_host_device_scalarIT1_EEPKT4_lPKT5_lS7_PT6_PKS3_21rocsparse_index_base_b.uses_flat_scratch, 0
	.set _ZN9rocsparseL16sddmm_ell_kernelILi512ELi4EdlldddEEv20rocsparse_operation_S1_16rocsparse_order_S2_T3_S3_S3_T2_NS_24const_host_device_scalarIT1_EEPKT4_lPKT5_lS7_PT6_PKS3_21rocsparse_index_base_b.has_dyn_sized_stack, 0
	.set _ZN9rocsparseL16sddmm_ell_kernelILi512ELi4EdlldddEEv20rocsparse_operation_S1_16rocsparse_order_S2_T3_S3_S3_T2_NS_24const_host_device_scalarIT1_EEPKT4_lPKT5_lS7_PT6_PKS3_21rocsparse_index_base_b.has_recursion, 0
	.set _ZN9rocsparseL16sddmm_ell_kernelILi512ELi4EdlldddEEv20rocsparse_operation_S1_16rocsparse_order_S2_T3_S3_S3_T2_NS_24const_host_device_scalarIT1_EEPKT4_lPKT5_lS7_PT6_PKS3_21rocsparse_index_base_b.has_indirect_call, 0
	.section	.AMDGPU.csdata,"",@progbits
; Kernel info:
; codeLenInByte = 1696
; TotalNumSgprs: 26
; NumVgprs: 22
; ScratchSize: 0
; MemoryBound: 0
; FloatMode: 240
; IeeeMode: 1
; LDSByteSize: 4096 bytes/workgroup (compile time only)
; SGPRBlocks: 0
; VGPRBlocks: 1
; NumSGPRsForWavesPerEU: 26
; NumVGPRsForWavesPerEU: 22
; NamedBarCnt: 0
; Occupancy: 16
; WaveLimiterHint : 0
; COMPUTE_PGM_RSRC2:SCRATCH_EN: 0
; COMPUTE_PGM_RSRC2:USER_SGPR: 2
; COMPUTE_PGM_RSRC2:TRAP_HANDLER: 0
; COMPUTE_PGM_RSRC2:TGID_X_EN: 1
; COMPUTE_PGM_RSRC2:TGID_Y_EN: 0
; COMPUTE_PGM_RSRC2:TGID_Z_EN: 0
; COMPUTE_PGM_RSRC2:TIDIG_COMP_CNT: 0
	.section	.text._ZN9rocsparseL16sddmm_ell_kernelILi512ELi2EdlldddEEv20rocsparse_operation_S1_16rocsparse_order_S2_T3_S3_S3_T2_NS_24const_host_device_scalarIT1_EEPKT4_lPKT5_lS7_PT6_PKS3_21rocsparse_index_base_b,"axG",@progbits,_ZN9rocsparseL16sddmm_ell_kernelILi512ELi2EdlldddEEv20rocsparse_operation_S1_16rocsparse_order_S2_T3_S3_S3_T2_NS_24const_host_device_scalarIT1_EEPKT4_lPKT5_lS7_PT6_PKS3_21rocsparse_index_base_b,comdat
	.globl	_ZN9rocsparseL16sddmm_ell_kernelILi512ELi2EdlldddEEv20rocsparse_operation_S1_16rocsparse_order_S2_T3_S3_S3_T2_NS_24const_host_device_scalarIT1_EEPKT4_lPKT5_lS7_PT6_PKS3_21rocsparse_index_base_b ; -- Begin function _ZN9rocsparseL16sddmm_ell_kernelILi512ELi2EdlldddEEv20rocsparse_operation_S1_16rocsparse_order_S2_T3_S3_S3_T2_NS_24const_host_device_scalarIT1_EEPKT4_lPKT5_lS7_PT6_PKS3_21rocsparse_index_base_b
	.p2align	8
	.type	_ZN9rocsparseL16sddmm_ell_kernelILi512ELi2EdlldddEEv20rocsparse_operation_S1_16rocsparse_order_S2_T3_S3_S3_T2_NS_24const_host_device_scalarIT1_EEPKT4_lPKT5_lS7_PT6_PKS3_21rocsparse_index_base_b,@function
_ZN9rocsparseL16sddmm_ell_kernelILi512ELi2EdlldddEEv20rocsparse_operation_S1_16rocsparse_order_S2_T3_S3_S3_T2_NS_24const_host_device_scalarIT1_EEPKT4_lPKT5_lS7_PT6_PKS3_21rocsparse_index_base_b: ; @_ZN9rocsparseL16sddmm_ell_kernelILi512ELi2EdlldddEEv20rocsparse_operation_S1_16rocsparse_order_S2_T3_S3_S3_T2_NS_24const_host_device_scalarIT1_EEPKT4_lPKT5_lS7_PT6_PKS3_21rocsparse_index_base_b
; %bb.0:
	s_clause 0x2
	s_load_b64 s[12:13], s[0:1], 0x70
	s_load_b64 s[2:3], s[0:1], 0x30
	s_load_b128 s[8:11], s[0:1], 0x50
	s_wait_kmcnt 0x0
	s_bitcmp1_b32 s13, 0
	v_mov_b64_e32 v[2:3], s[2:3]
	s_cselect_b32 s4, -1, 0
	s_delay_alu instid0(SALU_CYCLE_1)
	s_and_b32 vcc_lo, exec_lo, s4
	s_xor_b32 s4, s4, -1
	s_cbranch_vccnz .LBB46_2
; %bb.1:
	v_mov_b32_e32 v1, 0
	flat_load_b64 v[2:3], v1, s[2:3]
.LBB46_2:
	v_mov_b64_e32 v[4:5], s[10:11]
	s_and_not1_b32 vcc_lo, exec_lo, s4
	s_cbranch_vccnz .LBB46_4
; %bb.3:
	s_wait_xcnt 0x0
	v_mov_b32_e32 v1, 0
	flat_load_b64 v[4:5], v1, s[10:11]
.LBB46_4:
	s_wait_loadcnt_dscnt 0x0
	v_cmp_neq_f64_e32 vcc_lo, 0, v[2:3]
	s_delay_alu instid0(VALU_DEP_2) | instskip(SKIP_1) | instid1(SALU_CYCLE_1)
	v_cmp_neq_f64_e64 s2, 1.0, v[4:5]
	s_or_b32 s2, vcc_lo, s2
	s_and_saveexec_b32 s3, s2
	s_cbranch_execz .LBB46_35
; %bb.5:
	s_load_b128 s[4:7], s[0:1], 0x20
	s_bfe_u32 s2, ttmp6, 0x4000c
	s_and_b32 s3, ttmp6, 15
	s_add_co_i32 s2, s2, 1
	s_getreg_b32 s10, hwreg(HW_REG_IB_STS2, 6, 4)
	s_mul_i32 s2, ttmp9, s2
	v_dual_mov_b32 v7, 0 :: v_dual_lshrrev_b32 v16, 1, v0
	s_add_co_i32 s3, s3, s2
	s_cmp_eq_u32 s10, 0
	s_cselect_b32 s2, ttmp9, s3
	s_delay_alu instid0(VALU_DEP_1) | instid1(SALU_CYCLE_1)
	v_lshl_or_b32 v6, s2, 8, v16
	s_wait_kmcnt 0x0
	s_delay_alu instid0(VALU_DEP_1)
	v_cmp_gt_i64_e32 vcc_lo, s[6:7], v[6:7]
	s_and_b32 exec_lo, exec_lo, vcc_lo
	s_cbranch_execz .LBB46_35
; %bb.6:
	s_load_b64 s[6:7], s[0:1], 0x10
                                        ; implicit-def: $vgpr12_vgpr13
	s_wait_kmcnt 0x0
	s_and_b64 s[2:3], s[6:7], 0xffffffff00000000
	s_delay_alu instid0(SALU_CYCLE_1) | instskip(SKIP_1) | instid1(SALU_CYCLE_1)
	s_cmp_lg_u64 s[2:3], 0
	s_cselect_b32 s2, -1, 0
	s_and_saveexec_b32 s3, s2
	s_delay_alu instid0(SALU_CYCLE_1)
	s_xor_b32 s3, exec_lo, s3
	s_cbranch_execz .LBB46_8
; %bb.7:
	s_ashr_i32 s10, s7, 31
	s_mov_b32 s21, 0
	s_mov_b32 s11, s10
	v_add_nc_u64_e32 v[8:9], 0, v[6:7]
	s_add_nc_u64 s[14:15], s[6:7], s[10:11]
	v_mov_b32_e32 v11, 0
	s_xor_b64 s[10:11], s[14:15], s[10:11]
	s_delay_alu instid0(SALU_CYCLE_1) | instskip(SKIP_3) | instid1(SALU_CYCLE_1)
	s_cvt_f32_u32 s2, s10
	s_cvt_f32_u32 s7, s11
	s_sub_nc_u64 s[16:17], 0, s[10:11]
	v_mov_b32_e32 v10, v8
	s_fmamk_f32 s2, s7, 0x4f800000, s2
	s_delay_alu instid0(SALU_CYCLE_3) | instskip(NEXT) | instid1(TRANS32_DEP_1)
	v_s_rcp_f32 s2, s2
	s_mul_f32 s2, s2, 0x5f7ffffc
	s_delay_alu instid0(SALU_CYCLE_3) | instskip(NEXT) | instid1(SALU_CYCLE_3)
	s_mul_f32 s7, s2, 0x2f800000
	s_trunc_f32 s7, s7
	s_delay_alu instid0(SALU_CYCLE_3) | instskip(SKIP_1) | instid1(SALU_CYCLE_2)
	s_fmamk_f32 s2, s7, 0xcf800000, s2
	s_cvt_u32_f32 s15, s7
	s_cvt_u32_f32 s14, s2
	s_delay_alu instid0(SALU_CYCLE_3) | instskip(NEXT) | instid1(SALU_CYCLE_1)
	s_mul_u64 s[18:19], s[16:17], s[14:15]
	s_mul_hi_u32 s23, s14, s19
	s_mul_i32 s22, s14, s19
	s_mul_hi_u32 s20, s14, s18
	s_mul_i32 s7, s15, s18
	s_add_nc_u64 s[22:23], s[20:21], s[22:23]
	s_mul_hi_u32 s2, s15, s18
	s_mul_hi_u32 s13, s15, s19
	s_add_co_u32 s7, s22, s7
	s_add_co_ci_u32 s20, s23, s2
	s_mul_i32 s18, s15, s19
	s_add_co_ci_u32 s19, s13, 0
	s_delay_alu instid0(SALU_CYCLE_1) | instskip(NEXT) | instid1(SALU_CYCLE_1)
	s_add_nc_u64 s[18:19], s[20:21], s[18:19]
	s_add_co_u32 s14, s14, s18
	s_cselect_b32 s2, -1, 0
	s_delay_alu instid0(SALU_CYCLE_1) | instskip(SKIP_1) | instid1(SALU_CYCLE_1)
	s_cmp_lg_u32 s2, 0
	s_add_co_ci_u32 s15, s15, s19
	s_mul_u64 s[16:17], s[16:17], s[14:15]
	s_delay_alu instid0(SALU_CYCLE_1)
	s_mul_hi_u32 s19, s14, s17
	s_mul_i32 s18, s14, s17
	s_mul_hi_u32 s20, s14, s16
	s_mul_i32 s7, s15, s16
	s_add_nc_u64 s[18:19], s[20:21], s[18:19]
	s_mul_hi_u32 s2, s15, s16
	s_mul_hi_u32 s13, s15, s17
	s_add_co_u32 s7, s18, s7
	s_add_co_ci_u32 s20, s19, s2
	s_mul_i32 s16, s15, s17
	s_add_co_ci_u32 s17, s13, 0
	s_delay_alu instid0(SALU_CYCLE_1) | instskip(NEXT) | instid1(SALU_CYCLE_1)
	s_add_nc_u64 s[16:17], s[20:21], s[16:17]
	s_add_co_u32 s2, s14, s16
	s_cselect_b32 s7, -1, 0
	s_delay_alu instid0(SALU_CYCLE_1)
	s_cmp_lg_u32 s7, 0
	s_add_co_ci_u32 s20, s15, s17
	s_mov_b64 s[14:15], 0xffffffff
	v_mul_u64_e32 v[12:13], s[20:21], v[10:11]
	v_mul_hi_u32 v10, v8, s2
	s_and_b64 s[14:15], s[2:3], s[14:15]
	s_delay_alu instid0(VALU_DEP_1) | instskip(SKIP_1) | instid1(VALU_DEP_1)
	v_add_nc_u64_e32 v[12:13], v[10:11], v[12:13]
	v_mov_b32_e32 v10, v9
	v_mul_u64_e32 v[14:15], s[14:15], v[10:11]
	v_mul_u64_e32 v[18:19], s[20:21], v[10:11]
	s_delay_alu instid0(VALU_DEP_2) | instskip(NEXT) | instid1(VALU_DEP_3)
	v_add_co_u32 v1, vcc_lo, v12, v14
	v_add_co_ci_u32_e32 v10, vcc_lo, v13, v15, vcc_lo
	s_delay_alu instid0(VALU_DEP_3) | instskip(NEXT) | instid1(VALU_DEP_1)
	v_add_co_ci_u32_e32 v19, vcc_lo, 0, v19, vcc_lo
	v_add_nc_u64_e32 v[10:11], v[10:11], v[18:19]
	s_delay_alu instid0(VALU_DEP_1) | instskip(NEXT) | instid1(VALU_DEP_1)
	v_mul_u64_e32 v[10:11], s[10:11], v[10:11]
	v_sub_nc_u32_e32 v1, v9, v11
	s_delay_alu instid0(VALU_DEP_2) | instskip(NEXT) | instid1(VALU_DEP_1)
	v_sub_co_u32 v8, vcc_lo, v8, v10
	v_sub_co_ci_u32_e64 v9, null, v9, v11, vcc_lo
	s_delay_alu instid0(VALU_DEP_3) | instskip(NEXT) | instid1(VALU_DEP_3)
	v_subrev_co_ci_u32_e64 v1, null, s11, v1, vcc_lo
	v_sub_co_u32 v10, vcc_lo, v8, s10
	v_cmp_le_u32_e64 s2, s10, v8
	s_delay_alu instid0(VALU_DEP_3) | instskip(SKIP_1) | instid1(VALU_DEP_3)
	v_subrev_co_ci_u32_e64 v11, null, 0, v1, vcc_lo
	v_subrev_co_ci_u32_e64 v1, null, s11, v1, vcc_lo
	v_cndmask_b32_e64 v12, 0, -1, s2
	v_cmp_le_u32_e64 s2, s10, v10
	v_cmp_le_u32_e32 vcc_lo, s11, v9
	s_delay_alu instid0(VALU_DEP_2) | instskip(SKIP_3) | instid1(VALU_DEP_3)
	v_cndmask_b32_e64 v13, 0, -1, s2
	v_cmp_le_u32_e64 s2, s11, v11
	v_cndmask_b32_e64 v15, 0, -1, vcc_lo
	v_cmp_eq_u32_e32 vcc_lo, s11, v11
	v_cndmask_b32_e64 v14, 0, -1, s2
	v_cmp_eq_u32_e64 s2, s11, v9
	s_delay_alu instid0(VALU_DEP_1) | instskip(SKIP_1) | instid1(VALU_DEP_1)
	v_dual_cndmask_b32 v13, v14, v13, vcc_lo :: v_dual_cndmask_b32 v12, v15, v12, s2
	v_sub_co_u32 v14, vcc_lo, v10, s10
	v_subrev_co_ci_u32_e64 v1, null, 0, v1, vcc_lo
	s_delay_alu instid0(VALU_DEP_3) | instskip(NEXT) | instid1(VALU_DEP_2)
	v_cmp_ne_u32_e32 vcc_lo, 0, v13
	v_dual_cndmask_b32 v1, v11, v1 :: v_dual_cndmask_b32 v10, v10, v14
	v_cmp_ne_u32_e32 vcc_lo, 0, v12
	s_delay_alu instid0(VALU_DEP_2) | instskip(NEXT) | instid1(VALU_DEP_1)
	v_dual_cndmask_b32 v9, v9, v1 :: v_dual_cndmask_b32 v8, v8, v10
	v_sub_nc_u64_e64 v[12:13], v[8:9], 0
.LBB46_8:
	s_or_saveexec_b32 s7, s3
	s_load_b64 s[2:3], s[0:1], 0x68
	s_xor_b32 exec_lo, exec_lo, s7
	s_cbranch_execz .LBB46_10
; %bb.9:
	v_cvt_f32_u32_e32 v1, s6
	s_sub_co_i32 s10, 0, s6
	v_mov_b32_e32 v13, 0
	s_delay_alu instid0(VALU_DEP_2) | instskip(SKIP_1) | instid1(TRANS32_DEP_1)
	v_rcp_iflag_f32_e32 v1, v1
	v_nop
	v_mul_f32_e32 v1, 0x4f7ffffe, v1
	s_delay_alu instid0(VALU_DEP_1) | instskip(NEXT) | instid1(VALU_DEP_1)
	v_cvt_u32_f32_e32 v1, v1
	v_mul_lo_u32 v8, s10, v1
	s_delay_alu instid0(VALU_DEP_1) | instskip(NEXT) | instid1(VALU_DEP_1)
	v_mul_hi_u32 v8, v1, v8
	v_add_nc_u32_e32 v1, v1, v8
	s_delay_alu instid0(VALU_DEP_1) | instskip(NEXT) | instid1(VALU_DEP_1)
	v_mul_hi_u32 v1, v6, v1
	v_mul_lo_u32 v1, v1, s6
	s_delay_alu instid0(VALU_DEP_1) | instskip(NEXT) | instid1(VALU_DEP_1)
	v_sub_nc_u32_e32 v1, v6, v1
	v_subrev_nc_u32_e32 v8, s6, v1
	v_cmp_le_u32_e32 vcc_lo, s6, v1
	s_delay_alu instid0(VALU_DEP_2) | instskip(NEXT) | instid1(VALU_DEP_1)
	v_cndmask_b32_e32 v1, v1, v8, vcc_lo
	v_subrev_nc_u32_e32 v8, s6, v1
	v_cmp_le_u32_e32 vcc_lo, s6, v1
	s_delay_alu instid0(VALU_DEP_2)
	v_cndmask_b32_e32 v12, v1, v8, vcc_lo
.LBB46_10:
	s_or_b32 exec_lo, exec_lo, s7
	s_wait_kmcnt 0x0
	v_lshl_add_u64 v[8:9], v[6:7], 3, s[2:3]
	s_mov_b32 s13, 0
	global_load_b64 v[8:9], v[8:9], off
	s_wait_loadcnt 0x0
	v_sub_nc_u64_e64 v[10:11], v[8:9], s[12:13]
	s_delay_alu instid0(VALU_DEP_1)
	v_cmp_lt_i64_e32 vcc_lo, -1, v[10:11]
	s_and_b32 exec_lo, exec_lo, vcc_lo
	s_cbranch_execz .LBB46_35
; %bb.11:
	s_clause 0x1
	s_load_b128 s[12:15], s[0:1], 0x0
	s_load_b64 s[2:3], s[0:1], 0x40
	s_wait_kmcnt 0x0
	s_cmp_eq_u32 s14, 1
	s_cselect_b32 s6, -1, 0
	s_cmp_eq_u32 s12, 0x6f
	s_cselect_b32 s7, -1, 0
	s_cmp_lg_u32 s12, 0x6f
	s_cselect_b32 s10, -1, 0
	s_cmp_lg_u32 s14, 1
	s_cbranch_scc0 .LBB46_15
; %bb.12:
	v_mov_b64_e32 v[8:9], v[12:13]
	s_and_not1_b32 vcc_lo, exec_lo, s7
	s_cbranch_vccnz .LBB46_14
; %bb.13:
	v_mul_u64_e32 v[8:9], s[2:3], v[12:13]
.LBB46_14:
	s_cbranch_execz .LBB46_16
	s_branch .LBB46_19
.LBB46_15:
                                        ; implicit-def: $vgpr8_vgpr9
.LBB46_16:
	s_and_not1_b32 vcc_lo, exec_lo, s10
	s_cbranch_vccnz .LBB46_18
; %bb.17:
	v_mul_u64_e32 v[12:13], s[2:3], v[12:13]
.LBB46_18:
	s_delay_alu instid0(VALU_DEP_1)
	v_mov_b64_e32 v[8:9], v[12:13]
.LBB46_19:
	s_cmp_eq_u32 s15, 1
	s_cselect_b32 s10, -1, 0
	s_cmp_eq_u32 s13, 0x6f
	s_cselect_b32 s12, -1, 0
	s_cmp_lg_u32 s13, 0x6f
	s_cselect_b32 s11, -1, 0
	s_cmp_lg_u32 s15, 1
	s_cbranch_scc0 .LBB46_23
; %bb.20:
	v_mov_b64_e32 v[12:13], v[10:11]
	s_and_not1_b32 vcc_lo, exec_lo, s11
	s_cbranch_vccnz .LBB46_22
; %bb.21:
	v_mul_u64_e32 v[12:13], s[8:9], v[10:11]
.LBB46_22:
	s_cbranch_execz .LBB46_24
	s_branch .LBB46_27
.LBB46_23:
                                        ; implicit-def: $vgpr12_vgpr13
.LBB46_24:
	s_and_not1_b32 vcc_lo, exec_lo, s12
	s_cbranch_vccnz .LBB46_26
; %bb.25:
	v_mul_u64_e32 v[10:11], s[8:9], v[10:11]
.LBB46_26:
	s_delay_alu instid0(VALU_DEP_1)
	v_mov_b64_e32 v[12:13], v[10:11]
.LBB46_27:
	v_mov_b64_e32 v[10:11], 0
	v_dual_mov_b32 v1, 0 :: v_dual_bitop2_b32 v0, 1, v0 bitop3:0x40
	s_mov_b32 s11, exec_lo
	s_delay_alu instid0(VALU_DEP_1)
	v_cmpx_gt_i64_e64 s[4:5], v[0:1]
	s_cbranch_execz .LBB46_31
; %bb.28:
	s_xor_b32 s6, s7, s6
	v_lshlrev_b64_e32 v[8:9], 3, v[8:9]
	s_and_b32 s6, s6, exec_lo
	s_cselect_b32 s7, 0, s3
	s_cselect_b32 s6, 1, s2
	s_xor_b32 s2, s12, s10
	v_mul_u64_e32 v[10:11], s[6:7], v[0:1]
	s_and_b32 s2, s2, exec_lo
	s_cselect_b32 s3, s9, 0
	s_cselect_b32 s2, s8, 1
	s_clause 0x1
	s_load_b64 s[8:9], s[0:1], 0x38
	s_load_b64 s[12:13], s[0:1], 0x48
	v_mul_u64_e32 v[14:15], s[2:3], v[0:1]
	v_lshlrev_b64_e32 v[12:13], 3, v[12:13]
	s_lshl_b64 s[2:3], s[2:3], 4
	s_lshl_b64 s[6:7], s[6:7], 4
	s_delay_alu instid0(VALU_DEP_3) | instskip(NEXT) | instid1(VALU_DEP_2)
	v_lshl_add_u64 v[8:9], v[10:11], 3, v[8:9]
	v_lshl_add_u64 v[10:11], v[14:15], 3, v[12:13]
	s_wait_kmcnt 0x0
	s_delay_alu instid0(VALU_DEP_2)
	v_add_nc_u64_e32 v[8:9], s[8:9], v[8:9]
	v_mov_b64_e32 v[14:15], v[0:1]
	s_mov_b32 s8, 0
	v_add_nc_u64_e32 v[12:13], s[12:13], v[10:11]
	v_mov_b64_e32 v[10:11], 0
.LBB46_29:                              ; =>This Inner Loop Header: Depth=1
	global_load_b64 v[18:19], v[8:9], off
	global_load_b64 v[20:21], v[12:13], off
	v_add_nc_u64_e32 v[14:15], 2, v[14:15]
	s_wait_xcnt 0x0
	v_add_nc_u64_e32 v[12:13], s[2:3], v[12:13]
	v_add_nc_u64_e32 v[8:9], s[6:7], v[8:9]
	s_delay_alu instid0(VALU_DEP_3)
	v_cmp_le_i64_e32 vcc_lo, s[4:5], v[14:15]
	s_or_b32 s8, vcc_lo, s8
	s_wait_loadcnt 0x0
	v_fmac_f64_e32 v[10:11], v[18:19], v[20:21]
	s_and_not1_b32 exec_lo, exec_lo, s8
	s_cbranch_execnz .LBB46_29
; %bb.30:
	s_or_b32 exec_lo, exec_lo, s8
.LBB46_31:
	s_delay_alu instid0(SALU_CYCLE_1) | instskip(SKIP_3) | instid1(VALU_DEP_2)
	s_or_b32 exec_lo, exec_lo, s11
	s_load_b64 s[0:1], s[0:1], 0x60
	v_lshlrev_b32_e32 v1, 4, v16
	v_cmp_eq_u32_e32 vcc_lo, 0, v0
	v_lshl_or_b32 v8, v0, 3, v1
	ds_store_b64 v8, v[10:11]
	s_wait_dscnt 0x0
	s_barrier_signal -1
	s_barrier_wait -1
	s_and_saveexec_b32 s2, vcc_lo
	s_cbranch_execz .LBB46_33
; %bb.32:
	ds_load_b64 v[10:11], v1 offset:8
	ds_load_b64 v[12:13], v8
	s_wait_dscnt 0x0
	v_add_f64_e32 v[10:11], v[10:11], v[12:13]
	ds_store_b64 v8, v[10:11]
.LBB46_33:
	s_or_b32 exec_lo, exec_lo, s2
	s_wait_dscnt 0x0
	s_barrier_signal -1
	s_barrier_wait -1
	s_and_b32 exec_lo, exec_lo, vcc_lo
	s_cbranch_execz .LBB46_35
; %bb.34:
	s_wait_kmcnt 0x0
	v_lshl_add_u64 v[6:7], v[6:7], 3, s[0:1]
	ds_load_b64 v[0:1], v1
	global_load_b64 v[8:9], v[6:7], off
	s_wait_dscnt 0x0
	v_mul_f64_e32 v[0:1], v[2:3], v[0:1]
	s_wait_loadcnt 0x0
	s_delay_alu instid0(VALU_DEP_1)
	v_fmac_f64_e32 v[0:1], v[4:5], v[8:9]
	global_store_b64 v[6:7], v[0:1], off
.LBB46_35:
	s_endpgm
	.section	.rodata,"a",@progbits
	.p2align	6, 0x0
	.amdhsa_kernel _ZN9rocsparseL16sddmm_ell_kernelILi512ELi2EdlldddEEv20rocsparse_operation_S1_16rocsparse_order_S2_T3_S3_S3_T2_NS_24const_host_device_scalarIT1_EEPKT4_lPKT5_lS7_PT6_PKS3_21rocsparse_index_base_b
		.amdhsa_group_segment_fixed_size 4096
		.amdhsa_private_segment_fixed_size 0
		.amdhsa_kernarg_size 120
		.amdhsa_user_sgpr_count 2
		.amdhsa_user_sgpr_dispatch_ptr 0
		.amdhsa_user_sgpr_queue_ptr 0
		.amdhsa_user_sgpr_kernarg_segment_ptr 1
		.amdhsa_user_sgpr_dispatch_id 0
		.amdhsa_user_sgpr_kernarg_preload_length 0
		.amdhsa_user_sgpr_kernarg_preload_offset 0
		.amdhsa_user_sgpr_private_segment_size 0
		.amdhsa_wavefront_size32 1
		.amdhsa_uses_dynamic_stack 0
		.amdhsa_enable_private_segment 0
		.amdhsa_system_sgpr_workgroup_id_x 1
		.amdhsa_system_sgpr_workgroup_id_y 0
		.amdhsa_system_sgpr_workgroup_id_z 0
		.amdhsa_system_sgpr_workgroup_info 0
		.amdhsa_system_vgpr_workitem_id 0
		.amdhsa_next_free_vgpr 22
		.amdhsa_next_free_sgpr 24
		.amdhsa_named_barrier_count 0
		.amdhsa_reserve_vcc 1
		.amdhsa_float_round_mode_32 0
		.amdhsa_float_round_mode_16_64 0
		.amdhsa_float_denorm_mode_32 3
		.amdhsa_float_denorm_mode_16_64 3
		.amdhsa_fp16_overflow 0
		.amdhsa_memory_ordered 1
		.amdhsa_forward_progress 1
		.amdhsa_inst_pref_size 13
		.amdhsa_round_robin_scheduling 0
		.amdhsa_exception_fp_ieee_invalid_op 0
		.amdhsa_exception_fp_denorm_src 0
		.amdhsa_exception_fp_ieee_div_zero 0
		.amdhsa_exception_fp_ieee_overflow 0
		.amdhsa_exception_fp_ieee_underflow 0
		.amdhsa_exception_fp_ieee_inexact 0
		.amdhsa_exception_int_div_zero 0
	.end_amdhsa_kernel
	.section	.text._ZN9rocsparseL16sddmm_ell_kernelILi512ELi2EdlldddEEv20rocsparse_operation_S1_16rocsparse_order_S2_T3_S3_S3_T2_NS_24const_host_device_scalarIT1_EEPKT4_lPKT5_lS7_PT6_PKS3_21rocsparse_index_base_b,"axG",@progbits,_ZN9rocsparseL16sddmm_ell_kernelILi512ELi2EdlldddEEv20rocsparse_operation_S1_16rocsparse_order_S2_T3_S3_S3_T2_NS_24const_host_device_scalarIT1_EEPKT4_lPKT5_lS7_PT6_PKS3_21rocsparse_index_base_b,comdat
.Lfunc_end46:
	.size	_ZN9rocsparseL16sddmm_ell_kernelILi512ELi2EdlldddEEv20rocsparse_operation_S1_16rocsparse_order_S2_T3_S3_S3_T2_NS_24const_host_device_scalarIT1_EEPKT4_lPKT5_lS7_PT6_PKS3_21rocsparse_index_base_b, .Lfunc_end46-_ZN9rocsparseL16sddmm_ell_kernelILi512ELi2EdlldddEEv20rocsparse_operation_S1_16rocsparse_order_S2_T3_S3_S3_T2_NS_24const_host_device_scalarIT1_EEPKT4_lPKT5_lS7_PT6_PKS3_21rocsparse_index_base_b
                                        ; -- End function
	.set _ZN9rocsparseL16sddmm_ell_kernelILi512ELi2EdlldddEEv20rocsparse_operation_S1_16rocsparse_order_S2_T3_S3_S3_T2_NS_24const_host_device_scalarIT1_EEPKT4_lPKT5_lS7_PT6_PKS3_21rocsparse_index_base_b.num_vgpr, 22
	.set _ZN9rocsparseL16sddmm_ell_kernelILi512ELi2EdlldddEEv20rocsparse_operation_S1_16rocsparse_order_S2_T3_S3_S3_T2_NS_24const_host_device_scalarIT1_EEPKT4_lPKT5_lS7_PT6_PKS3_21rocsparse_index_base_b.num_agpr, 0
	.set _ZN9rocsparseL16sddmm_ell_kernelILi512ELi2EdlldddEEv20rocsparse_operation_S1_16rocsparse_order_S2_T3_S3_S3_T2_NS_24const_host_device_scalarIT1_EEPKT4_lPKT5_lS7_PT6_PKS3_21rocsparse_index_base_b.numbered_sgpr, 24
	.set _ZN9rocsparseL16sddmm_ell_kernelILi512ELi2EdlldddEEv20rocsparse_operation_S1_16rocsparse_order_S2_T3_S3_S3_T2_NS_24const_host_device_scalarIT1_EEPKT4_lPKT5_lS7_PT6_PKS3_21rocsparse_index_base_b.num_named_barrier, 0
	.set _ZN9rocsparseL16sddmm_ell_kernelILi512ELi2EdlldddEEv20rocsparse_operation_S1_16rocsparse_order_S2_T3_S3_S3_T2_NS_24const_host_device_scalarIT1_EEPKT4_lPKT5_lS7_PT6_PKS3_21rocsparse_index_base_b.private_seg_size, 0
	.set _ZN9rocsparseL16sddmm_ell_kernelILi512ELi2EdlldddEEv20rocsparse_operation_S1_16rocsparse_order_S2_T3_S3_S3_T2_NS_24const_host_device_scalarIT1_EEPKT4_lPKT5_lS7_PT6_PKS3_21rocsparse_index_base_b.uses_vcc, 1
	.set _ZN9rocsparseL16sddmm_ell_kernelILi512ELi2EdlldddEEv20rocsparse_operation_S1_16rocsparse_order_S2_T3_S3_S3_T2_NS_24const_host_device_scalarIT1_EEPKT4_lPKT5_lS7_PT6_PKS3_21rocsparse_index_base_b.uses_flat_scratch, 0
	.set _ZN9rocsparseL16sddmm_ell_kernelILi512ELi2EdlldddEEv20rocsparse_operation_S1_16rocsparse_order_S2_T3_S3_S3_T2_NS_24const_host_device_scalarIT1_EEPKT4_lPKT5_lS7_PT6_PKS3_21rocsparse_index_base_b.has_dyn_sized_stack, 0
	.set _ZN9rocsparseL16sddmm_ell_kernelILi512ELi2EdlldddEEv20rocsparse_operation_S1_16rocsparse_order_S2_T3_S3_S3_T2_NS_24const_host_device_scalarIT1_EEPKT4_lPKT5_lS7_PT6_PKS3_21rocsparse_index_base_b.has_recursion, 0
	.set _ZN9rocsparseL16sddmm_ell_kernelILi512ELi2EdlldddEEv20rocsparse_operation_S1_16rocsparse_order_S2_T3_S3_S3_T2_NS_24const_host_device_scalarIT1_EEPKT4_lPKT5_lS7_PT6_PKS3_21rocsparse_index_base_b.has_indirect_call, 0
	.section	.AMDGPU.csdata,"",@progbits
; Kernel info:
; codeLenInByte = 1652
; TotalNumSgprs: 26
; NumVgprs: 22
; ScratchSize: 0
; MemoryBound: 0
; FloatMode: 240
; IeeeMode: 1
; LDSByteSize: 4096 bytes/workgroup (compile time only)
; SGPRBlocks: 0
; VGPRBlocks: 1
; NumSGPRsForWavesPerEU: 26
; NumVGPRsForWavesPerEU: 22
; NamedBarCnt: 0
; Occupancy: 16
; WaveLimiterHint : 0
; COMPUTE_PGM_RSRC2:SCRATCH_EN: 0
; COMPUTE_PGM_RSRC2:USER_SGPR: 2
; COMPUTE_PGM_RSRC2:TRAP_HANDLER: 0
; COMPUTE_PGM_RSRC2:TGID_X_EN: 1
; COMPUTE_PGM_RSRC2:TGID_Y_EN: 0
; COMPUTE_PGM_RSRC2:TGID_Z_EN: 0
; COMPUTE_PGM_RSRC2:TIDIG_COMP_CNT: 0
	.section	.text._ZN9rocsparseL16sddmm_ell_kernelILi512ELi1EdlldddEEv20rocsparse_operation_S1_16rocsparse_order_S2_T3_S3_S3_T2_NS_24const_host_device_scalarIT1_EEPKT4_lPKT5_lS7_PT6_PKS3_21rocsparse_index_base_b,"axG",@progbits,_ZN9rocsparseL16sddmm_ell_kernelILi512ELi1EdlldddEEv20rocsparse_operation_S1_16rocsparse_order_S2_T3_S3_S3_T2_NS_24const_host_device_scalarIT1_EEPKT4_lPKT5_lS7_PT6_PKS3_21rocsparse_index_base_b,comdat
	.globl	_ZN9rocsparseL16sddmm_ell_kernelILi512ELi1EdlldddEEv20rocsparse_operation_S1_16rocsparse_order_S2_T3_S3_S3_T2_NS_24const_host_device_scalarIT1_EEPKT4_lPKT5_lS7_PT6_PKS3_21rocsparse_index_base_b ; -- Begin function _ZN9rocsparseL16sddmm_ell_kernelILi512ELi1EdlldddEEv20rocsparse_operation_S1_16rocsparse_order_S2_T3_S3_S3_T2_NS_24const_host_device_scalarIT1_EEPKT4_lPKT5_lS7_PT6_PKS3_21rocsparse_index_base_b
	.p2align	8
	.type	_ZN9rocsparseL16sddmm_ell_kernelILi512ELi1EdlldddEEv20rocsparse_operation_S1_16rocsparse_order_S2_T3_S3_S3_T2_NS_24const_host_device_scalarIT1_EEPKT4_lPKT5_lS7_PT6_PKS3_21rocsparse_index_base_b,@function
_ZN9rocsparseL16sddmm_ell_kernelILi512ELi1EdlldddEEv20rocsparse_operation_S1_16rocsparse_order_S2_T3_S3_S3_T2_NS_24const_host_device_scalarIT1_EEPKT4_lPKT5_lS7_PT6_PKS3_21rocsparse_index_base_b: ; @_ZN9rocsparseL16sddmm_ell_kernelILi512ELi1EdlldddEEv20rocsparse_operation_S1_16rocsparse_order_S2_T3_S3_S3_T2_NS_24const_host_device_scalarIT1_EEPKT4_lPKT5_lS7_PT6_PKS3_21rocsparse_index_base_b
; %bb.0:
	s_clause 0x2
	s_load_b64 s[12:13], s[0:1], 0x70
	s_load_b64 s[2:3], s[0:1], 0x30
	s_load_b128 s[4:7], s[0:1], 0x50
	s_wait_kmcnt 0x0
	s_bitcmp1_b32 s13, 0
	v_mov_b64_e32 v[2:3], s[2:3]
	s_cselect_b32 s8, -1, 0
	s_delay_alu instid0(SALU_CYCLE_1)
	s_and_b32 vcc_lo, exec_lo, s8
	s_xor_b32 s8, s8, -1
	s_cbranch_vccnz .LBB47_2
; %bb.1:
	v_mov_b32_e32 v1, 0
	flat_load_b64 v[2:3], v1, s[2:3]
.LBB47_2:
	v_mov_b64_e32 v[4:5], s[6:7]
	s_and_not1_b32 vcc_lo, exec_lo, s8
	s_cbranch_vccnz .LBB47_4
; %bb.3:
	s_wait_xcnt 0x0
	v_mov_b32_e32 v1, 0
	flat_load_b64 v[4:5], v1, s[6:7]
.LBB47_4:
	s_wait_loadcnt_dscnt 0x0
	v_cmp_neq_f64_e32 vcc_lo, 0, v[2:3]
	s_delay_alu instid0(VALU_DEP_2) | instskip(SKIP_1) | instid1(SALU_CYCLE_1)
	v_cmp_neq_f64_e64 s2, 1.0, v[4:5]
	s_or_b32 s2, vcc_lo, s2
	s_and_saveexec_b32 s3, s2
	s_cbranch_execz .LBB47_32
; %bb.5:
	s_load_b128 s[8:11], s[0:1], 0x20
	s_bfe_u32 s2, ttmp6, 0x4000c
	s_and_b32 s3, ttmp6, 15
	s_add_co_i32 s2, s2, 1
	s_getreg_b32 s6, hwreg(HW_REG_IB_STS2, 6, 4)
	s_mul_i32 s2, ttmp9, s2
	v_mov_b32_e32 v7, 0
	s_add_co_i32 s3, s3, s2
	s_cmp_eq_u32 s6, 0
	s_cselect_b32 s2, ttmp9, s3
	s_delay_alu instid0(SALU_CYCLE_1) | instskip(SKIP_1) | instid1(VALU_DEP_1)
	v_lshl_or_b32 v6, s2, 9, v0
	s_wait_kmcnt 0x0
	v_cmp_gt_i64_e32 vcc_lo, s[10:11], v[6:7]
	s_and_b32 exec_lo, exec_lo, vcc_lo
	s_cbranch_execz .LBB47_32
; %bb.6:
	s_load_b64 s[6:7], s[0:1], 0x10
                                        ; implicit-def: $vgpr12_vgpr13
	s_wait_kmcnt 0x0
	s_and_b64 s[2:3], s[6:7], 0xffffffff00000000
	s_delay_alu instid0(SALU_CYCLE_1) | instskip(SKIP_1) | instid1(SALU_CYCLE_1)
	s_cmp_lg_u64 s[2:3], 0
	s_cselect_b32 s2, -1, 0
	s_and_saveexec_b32 s3, s2
	s_delay_alu instid0(SALU_CYCLE_1)
	s_xor_b32 s3, exec_lo, s3
	s_cbranch_execz .LBB47_8
; %bb.7:
	s_ashr_i32 s10, s7, 31
	s_mov_b32 s21, 0
	s_mov_b32 s11, s10
	v_add_nc_u64_e32 v[8:9], 0, v[6:7]
	s_add_nc_u64 s[14:15], s[6:7], s[10:11]
	v_mov_b32_e32 v11, 0
	s_xor_b64 s[10:11], s[14:15], s[10:11]
	s_delay_alu instid0(SALU_CYCLE_1) | instskip(SKIP_3) | instid1(SALU_CYCLE_1)
	s_cvt_f32_u32 s2, s10
	s_cvt_f32_u32 s7, s11
	s_sub_nc_u64 s[16:17], 0, s[10:11]
	v_mov_b32_e32 v10, v8
	s_fmamk_f32 s2, s7, 0x4f800000, s2
	s_delay_alu instid0(SALU_CYCLE_3) | instskip(NEXT) | instid1(TRANS32_DEP_1)
	v_s_rcp_f32 s2, s2
	s_mul_f32 s2, s2, 0x5f7ffffc
	s_delay_alu instid0(SALU_CYCLE_3) | instskip(NEXT) | instid1(SALU_CYCLE_3)
	s_mul_f32 s7, s2, 0x2f800000
	s_trunc_f32 s7, s7
	s_delay_alu instid0(SALU_CYCLE_3) | instskip(SKIP_1) | instid1(SALU_CYCLE_2)
	s_fmamk_f32 s2, s7, 0xcf800000, s2
	s_cvt_u32_f32 s15, s7
	s_cvt_u32_f32 s14, s2
	s_delay_alu instid0(SALU_CYCLE_3) | instskip(NEXT) | instid1(SALU_CYCLE_1)
	s_mul_u64 s[18:19], s[16:17], s[14:15]
	s_mul_hi_u32 s23, s14, s19
	s_mul_i32 s22, s14, s19
	s_mul_hi_u32 s20, s14, s18
	s_mul_i32 s7, s15, s18
	s_add_nc_u64 s[22:23], s[20:21], s[22:23]
	s_mul_hi_u32 s2, s15, s18
	s_mul_hi_u32 s13, s15, s19
	s_add_co_u32 s7, s22, s7
	s_add_co_ci_u32 s20, s23, s2
	s_mul_i32 s18, s15, s19
	s_add_co_ci_u32 s19, s13, 0
	s_delay_alu instid0(SALU_CYCLE_1) | instskip(NEXT) | instid1(SALU_CYCLE_1)
	s_add_nc_u64 s[18:19], s[20:21], s[18:19]
	s_add_co_u32 s14, s14, s18
	s_cselect_b32 s2, -1, 0
	s_delay_alu instid0(SALU_CYCLE_1) | instskip(SKIP_1) | instid1(SALU_CYCLE_1)
	s_cmp_lg_u32 s2, 0
	s_add_co_ci_u32 s15, s15, s19
	s_mul_u64 s[16:17], s[16:17], s[14:15]
	s_delay_alu instid0(SALU_CYCLE_1)
	s_mul_hi_u32 s19, s14, s17
	s_mul_i32 s18, s14, s17
	s_mul_hi_u32 s20, s14, s16
	s_mul_i32 s7, s15, s16
	s_add_nc_u64 s[18:19], s[20:21], s[18:19]
	s_mul_hi_u32 s2, s15, s16
	s_mul_hi_u32 s13, s15, s17
	s_add_co_u32 s7, s18, s7
	s_add_co_ci_u32 s20, s19, s2
	s_mul_i32 s16, s15, s17
	s_add_co_ci_u32 s17, s13, 0
	s_delay_alu instid0(SALU_CYCLE_1) | instskip(NEXT) | instid1(SALU_CYCLE_1)
	s_add_nc_u64 s[16:17], s[20:21], s[16:17]
	s_add_co_u32 s2, s14, s16
	s_cselect_b32 s7, -1, 0
	s_delay_alu instid0(SALU_CYCLE_1)
	s_cmp_lg_u32 s7, 0
	s_add_co_ci_u32 s20, s15, s17
	s_mov_b64 s[14:15], 0xffffffff
	v_mul_u64_e32 v[12:13], s[20:21], v[10:11]
	v_mul_hi_u32 v10, v8, s2
	s_and_b64 s[14:15], s[2:3], s[14:15]
	s_delay_alu instid0(VALU_DEP_1) | instskip(SKIP_1) | instid1(VALU_DEP_1)
	v_add_nc_u64_e32 v[12:13], v[10:11], v[12:13]
	v_mov_b32_e32 v10, v9
	v_mul_u64_e32 v[14:15], s[14:15], v[10:11]
	v_mul_u64_e32 v[16:17], s[20:21], v[10:11]
	s_delay_alu instid0(VALU_DEP_2) | instskip(NEXT) | instid1(VALU_DEP_3)
	v_add_co_u32 v1, vcc_lo, v12, v14
	v_add_co_ci_u32_e32 v10, vcc_lo, v13, v15, vcc_lo
	s_delay_alu instid0(VALU_DEP_3) | instskip(NEXT) | instid1(VALU_DEP_1)
	v_add_co_ci_u32_e32 v17, vcc_lo, 0, v17, vcc_lo
	v_add_nc_u64_e32 v[10:11], v[10:11], v[16:17]
	s_delay_alu instid0(VALU_DEP_1) | instskip(NEXT) | instid1(VALU_DEP_1)
	v_mul_u64_e32 v[10:11], s[10:11], v[10:11]
	v_sub_nc_u32_e32 v1, v9, v11
	s_delay_alu instid0(VALU_DEP_2) | instskip(NEXT) | instid1(VALU_DEP_1)
	v_sub_co_u32 v8, vcc_lo, v8, v10
	v_sub_co_ci_u32_e64 v9, null, v9, v11, vcc_lo
	s_delay_alu instid0(VALU_DEP_3) | instskip(NEXT) | instid1(VALU_DEP_3)
	v_subrev_co_ci_u32_e64 v1, null, s11, v1, vcc_lo
	v_sub_co_u32 v10, vcc_lo, v8, s10
	v_cmp_le_u32_e64 s2, s10, v8
	s_delay_alu instid0(VALU_DEP_3) | instskip(SKIP_1) | instid1(VALU_DEP_3)
	v_subrev_co_ci_u32_e64 v11, null, 0, v1, vcc_lo
	v_subrev_co_ci_u32_e64 v1, null, s11, v1, vcc_lo
	v_cndmask_b32_e64 v12, 0, -1, s2
	v_cmp_le_u32_e64 s2, s10, v10
	v_cmp_le_u32_e32 vcc_lo, s11, v9
	s_delay_alu instid0(VALU_DEP_2) | instskip(SKIP_3) | instid1(VALU_DEP_3)
	v_cndmask_b32_e64 v13, 0, -1, s2
	v_cmp_le_u32_e64 s2, s11, v11
	v_cndmask_b32_e64 v15, 0, -1, vcc_lo
	v_cmp_eq_u32_e32 vcc_lo, s11, v11
	v_cndmask_b32_e64 v14, 0, -1, s2
	v_cmp_eq_u32_e64 s2, s11, v9
	s_delay_alu instid0(VALU_DEP_1) | instskip(SKIP_1) | instid1(VALU_DEP_1)
	v_dual_cndmask_b32 v13, v14, v13, vcc_lo :: v_dual_cndmask_b32 v12, v15, v12, s2
	v_sub_co_u32 v14, vcc_lo, v10, s10
	v_subrev_co_ci_u32_e64 v1, null, 0, v1, vcc_lo
	s_delay_alu instid0(VALU_DEP_3) | instskip(NEXT) | instid1(VALU_DEP_2)
	v_cmp_ne_u32_e32 vcc_lo, 0, v13
	v_dual_cndmask_b32 v1, v11, v1 :: v_dual_cndmask_b32 v10, v10, v14
	v_cmp_ne_u32_e32 vcc_lo, 0, v12
	s_delay_alu instid0(VALU_DEP_2) | instskip(NEXT) | instid1(VALU_DEP_1)
	v_dual_cndmask_b32 v9, v9, v1 :: v_dual_cndmask_b32 v8, v8, v10
	v_sub_nc_u64_e64 v[12:13], v[8:9], 0
.LBB47_8:
	s_or_saveexec_b32 s7, s3
	s_load_b64 s[2:3], s[0:1], 0x68
	s_xor_b32 exec_lo, exec_lo, s7
	s_cbranch_execz .LBB47_10
; %bb.9:
	v_cvt_f32_u32_e32 v1, s6
	s_sub_co_i32 s10, 0, s6
	v_mov_b32_e32 v13, 0
	s_delay_alu instid0(VALU_DEP_2) | instskip(SKIP_1) | instid1(TRANS32_DEP_1)
	v_rcp_iflag_f32_e32 v1, v1
	v_nop
	v_mul_f32_e32 v1, 0x4f7ffffe, v1
	s_delay_alu instid0(VALU_DEP_1) | instskip(NEXT) | instid1(VALU_DEP_1)
	v_cvt_u32_f32_e32 v1, v1
	v_mul_lo_u32 v8, s10, v1
	s_delay_alu instid0(VALU_DEP_1) | instskip(NEXT) | instid1(VALU_DEP_1)
	v_mul_hi_u32 v8, v1, v8
	v_add_nc_u32_e32 v1, v1, v8
	s_delay_alu instid0(VALU_DEP_1) | instskip(NEXT) | instid1(VALU_DEP_1)
	v_mul_hi_u32 v1, v6, v1
	v_mul_lo_u32 v1, v1, s6
	s_delay_alu instid0(VALU_DEP_1) | instskip(NEXT) | instid1(VALU_DEP_1)
	v_sub_nc_u32_e32 v1, v6, v1
	v_subrev_nc_u32_e32 v8, s6, v1
	v_cmp_le_u32_e32 vcc_lo, s6, v1
	s_delay_alu instid0(VALU_DEP_2) | instskip(NEXT) | instid1(VALU_DEP_1)
	v_cndmask_b32_e32 v1, v1, v8, vcc_lo
	v_subrev_nc_u32_e32 v8, s6, v1
	v_cmp_le_u32_e32 vcc_lo, s6, v1
	s_delay_alu instid0(VALU_DEP_2)
	v_cndmask_b32_e32 v12, v1, v8, vcc_lo
.LBB47_10:
	s_or_b32 exec_lo, exec_lo, s7
	s_wait_kmcnt 0x0
	v_lshl_add_u64 v[8:9], v[6:7], 3, s[2:3]
	s_mov_b32 s13, 0
	global_load_b64 v[8:9], v[8:9], off
	s_wait_loadcnt 0x0
	v_sub_nc_u64_e64 v[8:9], v[8:9], s[12:13]
	s_delay_alu instid0(VALU_DEP_1)
	v_cmp_lt_i64_e32 vcc_lo, -1, v[8:9]
	s_and_b32 exec_lo, exec_lo, vcc_lo
	s_cbranch_execz .LBB47_32
; %bb.11:
	s_clause 0x1
	s_load_b128 s[12:15], s[0:1], 0x0
	s_load_b64 s[2:3], s[0:1], 0x40
	s_wait_kmcnt 0x0
	s_cmp_eq_u32 s14, 1
	s_cselect_b32 s6, -1, 0
	s_cmp_eq_u32 s12, 0x6f
	s_cselect_b32 s7, -1, 0
	s_cmp_lg_u32 s12, 0x6f
	s_cselect_b32 s10, -1, 0
	s_cmp_lg_u32 s14, 1
	s_cbranch_scc0 .LBB47_15
; %bb.12:
	v_mov_b64_e32 v[10:11], v[12:13]
	s_and_not1_b32 vcc_lo, exec_lo, s7
	s_cbranch_vccnz .LBB47_14
; %bb.13:
	v_mul_u64_e32 v[10:11], s[2:3], v[12:13]
.LBB47_14:
	s_cbranch_execz .LBB47_16
	s_branch .LBB47_19
.LBB47_15:
                                        ; implicit-def: $vgpr10_vgpr11
.LBB47_16:
	s_and_not1_b32 vcc_lo, exec_lo, s10
	s_cbranch_vccnz .LBB47_18
; %bb.17:
	v_mul_u64_e32 v[12:13], s[2:3], v[12:13]
.LBB47_18:
	s_delay_alu instid0(VALU_DEP_1)
	v_mov_b64_e32 v[10:11], v[12:13]
.LBB47_19:
	s_cmp_eq_u32 s15, 1
	s_cselect_b32 s10, -1, 0
	s_cmp_eq_u32 s13, 0x6f
	s_cselect_b32 s11, -1, 0
	s_cmp_lg_u32 s13, 0x6f
	s_cselect_b32 s12, -1, 0
	s_cmp_lg_u32 s15, 1
	s_cbranch_scc0 .LBB47_23
; %bb.20:
	v_mov_b64_e32 v[12:13], v[8:9]
	s_and_not1_b32 vcc_lo, exec_lo, s12
	s_cbranch_vccnz .LBB47_22
; %bb.21:
	v_mul_u64_e32 v[12:13], s[4:5], v[8:9]
.LBB47_22:
	s_cbranch_execz .LBB47_24
	s_branch .LBB47_27
.LBB47_23:
                                        ; implicit-def: $vgpr12_vgpr13
.LBB47_24:
	s_and_not1_b32 vcc_lo, exec_lo, s11
	s_cbranch_vccnz .LBB47_26
; %bb.25:
	v_mul_u64_e32 v[8:9], s[4:5], v[8:9]
.LBB47_26:
	s_delay_alu instid0(VALU_DEP_1)
	v_mov_b64_e32 v[12:13], v[8:9]
.LBB47_27:
	v_cmp_lt_i64_e64 s12, s[8:9], 1
	s_and_b32 vcc_lo, exec_lo, s12
	s_cbranch_vccnz .LBB47_30
; %bb.28:
	s_clause 0x1
	s_load_b64 s[12:13], s[0:1], 0x48
	s_load_b64 s[14:15], s[0:1], 0x38
	s_xor_b32 s6, s7, s6
	v_mov_b64_e32 v[8:9], 0
	s_and_b32 s6, s6, exec_lo
	s_cselect_b32 s7, 0, s3
	s_cselect_b32 s6, 1, s2
	s_xor_b32 s2, s11, s10
	s_delay_alu instid0(SALU_CYCLE_1)
	s_and_b32 s2, s2, exec_lo
	s_cselect_b32 s3, s5, 0
	s_cselect_b32 s2, s4, 1
	s_lshl_b64 s[4:5], s[6:7], 3
	s_lshl_b64 s[2:3], s[2:3], 3
	s_wait_kmcnt 0x0
	v_lshl_add_u64 v[12:13], v[12:13], 3, s[12:13]
	v_lshl_add_u64 v[10:11], v[10:11], 3, s[14:15]
.LBB47_29:                              ; =>This Inner Loop Header: Depth=1
	global_load_b64 v[14:15], v[10:11], off
	global_load_b64 v[16:17], v[12:13], off
	s_wait_xcnt 0x0
	v_add_nc_u64_e32 v[12:13], s[2:3], v[12:13]
	v_add_nc_u64_e32 v[10:11], s[4:5], v[10:11]
	s_add_nc_u64 s[8:9], s[8:9], -1
	s_delay_alu instid0(SALU_CYCLE_1)
	s_cmp_eq_u64 s[8:9], 0
	s_wait_loadcnt 0x0
	v_fmac_f64_e32 v[8:9], v[14:15], v[16:17]
	s_cbranch_scc0 .LBB47_29
	s_branch .LBB47_31
.LBB47_30:
	v_mov_b64_e32 v[8:9], 0
.LBB47_31:
	s_load_b64 s[0:1], s[0:1], 0x60
	v_lshlrev_b32_e32 v10, 3, v0
	ds_store_b64 v10, v[8:9]
	s_wait_dscnt 0x0
	s_barrier_signal -1
	s_barrier_wait -1
	ds_load_b64 v[8:9], v10
	s_wait_kmcnt 0x0
	v_lshl_add_u64 v[0:1], v[6:7], 3, s[0:1]
	global_load_b64 v[6:7], v[0:1], off
	s_wait_dscnt 0x0
	v_mul_f64_e32 v[2:3], v[2:3], v[8:9]
	s_wait_loadcnt 0x0
	s_delay_alu instid0(VALU_DEP_1)
	v_fmac_f64_e32 v[2:3], v[4:5], v[6:7]
	global_store_b64 v[0:1], v[2:3], off
.LBB47_32:
	s_endpgm
	.section	.rodata,"a",@progbits
	.p2align	6, 0x0
	.amdhsa_kernel _ZN9rocsparseL16sddmm_ell_kernelILi512ELi1EdlldddEEv20rocsparse_operation_S1_16rocsparse_order_S2_T3_S3_S3_T2_NS_24const_host_device_scalarIT1_EEPKT4_lPKT5_lS7_PT6_PKS3_21rocsparse_index_base_b
		.amdhsa_group_segment_fixed_size 4096
		.amdhsa_private_segment_fixed_size 0
		.amdhsa_kernarg_size 120
		.amdhsa_user_sgpr_count 2
		.amdhsa_user_sgpr_dispatch_ptr 0
		.amdhsa_user_sgpr_queue_ptr 0
		.amdhsa_user_sgpr_kernarg_segment_ptr 1
		.amdhsa_user_sgpr_dispatch_id 0
		.amdhsa_user_sgpr_kernarg_preload_length 0
		.amdhsa_user_sgpr_kernarg_preload_offset 0
		.amdhsa_user_sgpr_private_segment_size 0
		.amdhsa_wavefront_size32 1
		.amdhsa_uses_dynamic_stack 0
		.amdhsa_enable_private_segment 0
		.amdhsa_system_sgpr_workgroup_id_x 1
		.amdhsa_system_sgpr_workgroup_id_y 0
		.amdhsa_system_sgpr_workgroup_id_z 0
		.amdhsa_system_sgpr_workgroup_info 0
		.amdhsa_system_vgpr_workitem_id 0
		.amdhsa_next_free_vgpr 18
		.amdhsa_next_free_sgpr 24
		.amdhsa_named_barrier_count 0
		.amdhsa_reserve_vcc 1
		.amdhsa_float_round_mode_32 0
		.amdhsa_float_round_mode_16_64 0
		.amdhsa_float_denorm_mode_32 3
		.amdhsa_float_denorm_mode_16_64 3
		.amdhsa_fp16_overflow 0
		.amdhsa_memory_ordered 1
		.amdhsa_forward_progress 1
		.amdhsa_inst_pref_size 12
		.amdhsa_round_robin_scheduling 0
		.amdhsa_exception_fp_ieee_invalid_op 0
		.amdhsa_exception_fp_denorm_src 0
		.amdhsa_exception_fp_ieee_div_zero 0
		.amdhsa_exception_fp_ieee_overflow 0
		.amdhsa_exception_fp_ieee_underflow 0
		.amdhsa_exception_fp_ieee_inexact 0
		.amdhsa_exception_int_div_zero 0
	.end_amdhsa_kernel
	.section	.text._ZN9rocsparseL16sddmm_ell_kernelILi512ELi1EdlldddEEv20rocsparse_operation_S1_16rocsparse_order_S2_T3_S3_S3_T2_NS_24const_host_device_scalarIT1_EEPKT4_lPKT5_lS7_PT6_PKS3_21rocsparse_index_base_b,"axG",@progbits,_ZN9rocsparseL16sddmm_ell_kernelILi512ELi1EdlldddEEv20rocsparse_operation_S1_16rocsparse_order_S2_T3_S3_S3_T2_NS_24const_host_device_scalarIT1_EEPKT4_lPKT5_lS7_PT6_PKS3_21rocsparse_index_base_b,comdat
.Lfunc_end47:
	.size	_ZN9rocsparseL16sddmm_ell_kernelILi512ELi1EdlldddEEv20rocsparse_operation_S1_16rocsparse_order_S2_T3_S3_S3_T2_NS_24const_host_device_scalarIT1_EEPKT4_lPKT5_lS7_PT6_PKS3_21rocsparse_index_base_b, .Lfunc_end47-_ZN9rocsparseL16sddmm_ell_kernelILi512ELi1EdlldddEEv20rocsparse_operation_S1_16rocsparse_order_S2_T3_S3_S3_T2_NS_24const_host_device_scalarIT1_EEPKT4_lPKT5_lS7_PT6_PKS3_21rocsparse_index_base_b
                                        ; -- End function
	.set _ZN9rocsparseL16sddmm_ell_kernelILi512ELi1EdlldddEEv20rocsparse_operation_S1_16rocsparse_order_S2_T3_S3_S3_T2_NS_24const_host_device_scalarIT1_EEPKT4_lPKT5_lS7_PT6_PKS3_21rocsparse_index_base_b.num_vgpr, 18
	.set _ZN9rocsparseL16sddmm_ell_kernelILi512ELi1EdlldddEEv20rocsparse_operation_S1_16rocsparse_order_S2_T3_S3_S3_T2_NS_24const_host_device_scalarIT1_EEPKT4_lPKT5_lS7_PT6_PKS3_21rocsparse_index_base_b.num_agpr, 0
	.set _ZN9rocsparseL16sddmm_ell_kernelILi512ELi1EdlldddEEv20rocsparse_operation_S1_16rocsparse_order_S2_T3_S3_S3_T2_NS_24const_host_device_scalarIT1_EEPKT4_lPKT5_lS7_PT6_PKS3_21rocsparse_index_base_b.numbered_sgpr, 24
	.set _ZN9rocsparseL16sddmm_ell_kernelILi512ELi1EdlldddEEv20rocsparse_operation_S1_16rocsparse_order_S2_T3_S3_S3_T2_NS_24const_host_device_scalarIT1_EEPKT4_lPKT5_lS7_PT6_PKS3_21rocsparse_index_base_b.num_named_barrier, 0
	.set _ZN9rocsparseL16sddmm_ell_kernelILi512ELi1EdlldddEEv20rocsparse_operation_S1_16rocsparse_order_S2_T3_S3_S3_T2_NS_24const_host_device_scalarIT1_EEPKT4_lPKT5_lS7_PT6_PKS3_21rocsparse_index_base_b.private_seg_size, 0
	.set _ZN9rocsparseL16sddmm_ell_kernelILi512ELi1EdlldddEEv20rocsparse_operation_S1_16rocsparse_order_S2_T3_S3_S3_T2_NS_24const_host_device_scalarIT1_EEPKT4_lPKT5_lS7_PT6_PKS3_21rocsparse_index_base_b.uses_vcc, 1
	.set _ZN9rocsparseL16sddmm_ell_kernelILi512ELi1EdlldddEEv20rocsparse_operation_S1_16rocsparse_order_S2_T3_S3_S3_T2_NS_24const_host_device_scalarIT1_EEPKT4_lPKT5_lS7_PT6_PKS3_21rocsparse_index_base_b.uses_flat_scratch, 0
	.set _ZN9rocsparseL16sddmm_ell_kernelILi512ELi1EdlldddEEv20rocsparse_operation_S1_16rocsparse_order_S2_T3_S3_S3_T2_NS_24const_host_device_scalarIT1_EEPKT4_lPKT5_lS7_PT6_PKS3_21rocsparse_index_base_b.has_dyn_sized_stack, 0
	.set _ZN9rocsparseL16sddmm_ell_kernelILi512ELi1EdlldddEEv20rocsparse_operation_S1_16rocsparse_order_S2_T3_S3_S3_T2_NS_24const_host_device_scalarIT1_EEPKT4_lPKT5_lS7_PT6_PKS3_21rocsparse_index_base_b.has_recursion, 0
	.set _ZN9rocsparseL16sddmm_ell_kernelILi512ELi1EdlldddEEv20rocsparse_operation_S1_16rocsparse_order_S2_T3_S3_S3_T2_NS_24const_host_device_scalarIT1_EEPKT4_lPKT5_lS7_PT6_PKS3_21rocsparse_index_base_b.has_indirect_call, 0
	.section	.AMDGPU.csdata,"",@progbits
; Kernel info:
; codeLenInByte = 1500
; TotalNumSgprs: 26
; NumVgprs: 18
; ScratchSize: 0
; MemoryBound: 0
; FloatMode: 240
; IeeeMode: 1
; LDSByteSize: 4096 bytes/workgroup (compile time only)
; SGPRBlocks: 0
; VGPRBlocks: 1
; NumSGPRsForWavesPerEU: 26
; NumVGPRsForWavesPerEU: 18
; NamedBarCnt: 0
; Occupancy: 16
; WaveLimiterHint : 0
; COMPUTE_PGM_RSRC2:SCRATCH_EN: 0
; COMPUTE_PGM_RSRC2:USER_SGPR: 2
; COMPUTE_PGM_RSRC2:TRAP_HANDLER: 0
; COMPUTE_PGM_RSRC2:TGID_X_EN: 1
; COMPUTE_PGM_RSRC2:TGID_Y_EN: 0
; COMPUTE_PGM_RSRC2:TGID_Z_EN: 0
; COMPUTE_PGM_RSRC2:TIDIG_COMP_CNT: 0
	.section	.text._ZN9rocsparseL23sddmm_ell_sample_kernelILi16ELi32E21rocsparse_complex_numIfElS2_EEvT2_S3_PKT3_lS3_PS4_PKS3_21rocsparse_index_base_,"axG",@progbits,_ZN9rocsparseL23sddmm_ell_sample_kernelILi16ELi32E21rocsparse_complex_numIfElS2_EEvT2_S3_PKT3_lS3_PS4_PKS3_21rocsparse_index_base_,comdat
	.globl	_ZN9rocsparseL23sddmm_ell_sample_kernelILi16ELi32E21rocsparse_complex_numIfElS2_EEvT2_S3_PKT3_lS3_PS4_PKS3_21rocsparse_index_base_ ; -- Begin function _ZN9rocsparseL23sddmm_ell_sample_kernelILi16ELi32E21rocsparse_complex_numIfElS2_EEvT2_S3_PKT3_lS3_PS4_PKS3_21rocsparse_index_base_
	.p2align	8
	.type	_ZN9rocsparseL23sddmm_ell_sample_kernelILi16ELi32E21rocsparse_complex_numIfElS2_EEvT2_S3_PKT3_lS3_PS4_PKS3_21rocsparse_index_base_,@function
_ZN9rocsparseL23sddmm_ell_sample_kernelILi16ELi32E21rocsparse_complex_numIfElS2_EEvT2_S3_PKT3_lS3_PS4_PKS3_21rocsparse_index_base_: ; @_ZN9rocsparseL23sddmm_ell_sample_kernelILi16ELi32E21rocsparse_complex_numIfElS2_EEvT2_S3_PKT3_lS3_PS4_PKS3_21rocsparse_index_base_
; %bb.0:
	s_load_b128 s[8:11], s[0:1], 0x18
	s_bfe_u32 s2, ttmp6, 0x4000c
	s_and_b32 s3, ttmp6, 15
	s_add_co_i32 s2, s2, 1
	s_getreg_b32 s4, hwreg(HW_REG_IB_STS2, 6, 4)
	s_mul_i32 s2, ttmp9, s2
	v_dual_mov_b32 v1, 0 :: v_dual_lshrrev_b32 v2, 5, v0
	s_add_co_i32 s3, s3, s2
	s_cmp_eq_u32 s4, 0
	s_cselect_b32 s2, ttmp9, s3
	s_delay_alu instid0(VALU_DEP_1) | instskip(SKIP_3) | instid1(VALU_DEP_1)
	v_mov_b32_e32 v3, v1
	v_lshl_or_b32 v2, s2, 4, v2
	s_mov_b32 s2, exec_lo
	s_wait_kmcnt 0x0
	v_cmpx_gt_i64_e64 s[10:11], v[2:3]
	s_cbranch_execz .LBB48_6
; %bb.1:
	s_load_b128 s[4:7], s[0:1], 0x0
	v_and_b32_e32 v0, 31, v0
	s_wait_kmcnt 0x0
	s_delay_alu instid0(VALU_DEP_1)
	v_cmp_gt_i64_e32 vcc_lo, s[4:5], v[0:1]
	s_and_b32 exec_lo, exec_lo, vcc_lo
	s_cbranch_execz .LBB48_6
; %bb.2:
	v_mad_nc_u64_u32 v[4:5], s4, v2, v[0:1]
	s_clause 0x2
	s_load_b128 s[12:15], s[0:1], 0x28
	s_load_b64 s[10:11], s[0:1], 0x10
	s_load_b32 s2, s[0:1], 0x38
	v_dual_mov_b32 v7, 0 :: v_dual_lshlrev_b32 v6, 3, v0
	s_mov_b32 s3, 0
	s_lshl_b64 s[8:9], s[8:9], 3
	s_wait_xcnt 0x0
	s_mov_b32 s1, s3
	s_delay_alu instid0(VALU_DEP_2) | instskip(SKIP_2) | instid1(VALU_DEP_2)
	v_mad_u32 v5, s5, v2, v5
	s_wait_kmcnt 0x0
	v_add_nc_u64_e32 v[6:7], s[10:11], v[6:7]
	v_lshlrev_b64_e32 v[4:5], 3, v[4:5]
	s_delay_alu instid0(VALU_DEP_1)
	v_add_nc_u64_e32 v[2:3], s[14:15], v[4:5]
	v_add_nc_u64_e32 v[4:5], s[12:13], v[4:5]
	s_branch .LBB48_4
.LBB48_3:                               ;   in Loop: Header=BB48_4 Depth=1
	s_wait_xcnt 0x0
	s_or_b32 exec_lo, exec_lo, s0
	v_add_nc_u64_e32 v[0:1], 32, v[0:1]
	v_add_nc_u64_e32 v[2:3], 0x100, v[2:3]
	;; [unrolled: 1-line block ×4, first 2 shown]
	s_delay_alu instid0(VALU_DEP_4) | instskip(SKIP_1) | instid1(SALU_CYCLE_1)
	v_cmp_le_i64_e32 vcc_lo, s[4:5], v[0:1]
	s_or_b32 s1, vcc_lo, s1
	s_and_not1_b32 exec_lo, exec_lo, s1
	s_cbranch_execz .LBB48_6
.LBB48_4:                               ; =>This Inner Loop Header: Depth=1
	global_load_b64 v[8:9], v[2:3], off
	s_wait_loadcnt 0x0
	v_sub_nc_u64_e64 v[8:9], v[8:9], s[2:3]
	s_delay_alu instid0(VALU_DEP_1)
	v_cmp_lt_i64_e32 vcc_lo, -1, v[8:9]
	v_cmp_gt_i64_e64 s0, s[6:7], v[8:9]
	s_and_b32 s10, vcc_lo, s0
	s_wait_xcnt 0x0
	s_and_saveexec_b32 s0, s10
	s_cbranch_execz .LBB48_3
; %bb.5:                                ;   in Loop: Header=BB48_4 Depth=1
	v_mad_nc_u64_u32 v[10:11], s8, v8, v[6:7]
	s_delay_alu instid0(VALU_DEP_1) | instskip(NEXT) | instid1(VALU_DEP_1)
	v_mad_u32 v8, s9, v8, v11
	v_mad_u32 v11, s8, v9, v8
	global_load_b64 v[8:9], v[10:11], off
	s_wait_loadcnt 0x0
	global_store_b64 v[4:5], v[8:9], off
	s_branch .LBB48_3
.LBB48_6:
	s_endpgm
	.section	.rodata,"a",@progbits
	.p2align	6, 0x0
	.amdhsa_kernel _ZN9rocsparseL23sddmm_ell_sample_kernelILi16ELi32E21rocsparse_complex_numIfElS2_EEvT2_S3_PKT3_lS3_PS4_PKS3_21rocsparse_index_base_
		.amdhsa_group_segment_fixed_size 0
		.amdhsa_private_segment_fixed_size 0
		.amdhsa_kernarg_size 60
		.amdhsa_user_sgpr_count 2
		.amdhsa_user_sgpr_dispatch_ptr 0
		.amdhsa_user_sgpr_queue_ptr 0
		.amdhsa_user_sgpr_kernarg_segment_ptr 1
		.amdhsa_user_sgpr_dispatch_id 0
		.amdhsa_user_sgpr_kernarg_preload_length 0
		.amdhsa_user_sgpr_kernarg_preload_offset 0
		.amdhsa_user_sgpr_private_segment_size 0
		.amdhsa_wavefront_size32 1
		.amdhsa_uses_dynamic_stack 0
		.amdhsa_enable_private_segment 0
		.amdhsa_system_sgpr_workgroup_id_x 1
		.amdhsa_system_sgpr_workgroup_id_y 0
		.amdhsa_system_sgpr_workgroup_id_z 0
		.amdhsa_system_sgpr_workgroup_info 0
		.amdhsa_system_vgpr_workitem_id 0
		.amdhsa_next_free_vgpr 12
		.amdhsa_next_free_sgpr 16
		.amdhsa_named_barrier_count 0
		.amdhsa_reserve_vcc 1
		.amdhsa_float_round_mode_32 0
		.amdhsa_float_round_mode_16_64 0
		.amdhsa_float_denorm_mode_32 3
		.amdhsa_float_denorm_mode_16_64 3
		.amdhsa_fp16_overflow 0
		.amdhsa_memory_ordered 1
		.amdhsa_forward_progress 1
		.amdhsa_inst_pref_size 4
		.amdhsa_round_robin_scheduling 0
		.amdhsa_exception_fp_ieee_invalid_op 0
		.amdhsa_exception_fp_denorm_src 0
		.amdhsa_exception_fp_ieee_div_zero 0
		.amdhsa_exception_fp_ieee_overflow 0
		.amdhsa_exception_fp_ieee_underflow 0
		.amdhsa_exception_fp_ieee_inexact 0
		.amdhsa_exception_int_div_zero 0
	.end_amdhsa_kernel
	.section	.text._ZN9rocsparseL23sddmm_ell_sample_kernelILi16ELi32E21rocsparse_complex_numIfElS2_EEvT2_S3_PKT3_lS3_PS4_PKS3_21rocsparse_index_base_,"axG",@progbits,_ZN9rocsparseL23sddmm_ell_sample_kernelILi16ELi32E21rocsparse_complex_numIfElS2_EEvT2_S3_PKT3_lS3_PS4_PKS3_21rocsparse_index_base_,comdat
.Lfunc_end48:
	.size	_ZN9rocsparseL23sddmm_ell_sample_kernelILi16ELi32E21rocsparse_complex_numIfElS2_EEvT2_S3_PKT3_lS3_PS4_PKS3_21rocsparse_index_base_, .Lfunc_end48-_ZN9rocsparseL23sddmm_ell_sample_kernelILi16ELi32E21rocsparse_complex_numIfElS2_EEvT2_S3_PKT3_lS3_PS4_PKS3_21rocsparse_index_base_
                                        ; -- End function
	.set _ZN9rocsparseL23sddmm_ell_sample_kernelILi16ELi32E21rocsparse_complex_numIfElS2_EEvT2_S3_PKT3_lS3_PS4_PKS3_21rocsparse_index_base_.num_vgpr, 12
	.set _ZN9rocsparseL23sddmm_ell_sample_kernelILi16ELi32E21rocsparse_complex_numIfElS2_EEvT2_S3_PKT3_lS3_PS4_PKS3_21rocsparse_index_base_.num_agpr, 0
	.set _ZN9rocsparseL23sddmm_ell_sample_kernelILi16ELi32E21rocsparse_complex_numIfElS2_EEvT2_S3_PKT3_lS3_PS4_PKS3_21rocsparse_index_base_.numbered_sgpr, 16
	.set _ZN9rocsparseL23sddmm_ell_sample_kernelILi16ELi32E21rocsparse_complex_numIfElS2_EEvT2_S3_PKT3_lS3_PS4_PKS3_21rocsparse_index_base_.num_named_barrier, 0
	.set _ZN9rocsparseL23sddmm_ell_sample_kernelILi16ELi32E21rocsparse_complex_numIfElS2_EEvT2_S3_PKT3_lS3_PS4_PKS3_21rocsparse_index_base_.private_seg_size, 0
	.set _ZN9rocsparseL23sddmm_ell_sample_kernelILi16ELi32E21rocsparse_complex_numIfElS2_EEvT2_S3_PKT3_lS3_PS4_PKS3_21rocsparse_index_base_.uses_vcc, 1
	.set _ZN9rocsparseL23sddmm_ell_sample_kernelILi16ELi32E21rocsparse_complex_numIfElS2_EEvT2_S3_PKT3_lS3_PS4_PKS3_21rocsparse_index_base_.uses_flat_scratch, 0
	.set _ZN9rocsparseL23sddmm_ell_sample_kernelILi16ELi32E21rocsparse_complex_numIfElS2_EEvT2_S3_PKT3_lS3_PS4_PKS3_21rocsparse_index_base_.has_dyn_sized_stack, 0
	.set _ZN9rocsparseL23sddmm_ell_sample_kernelILi16ELi32E21rocsparse_complex_numIfElS2_EEvT2_S3_PKT3_lS3_PS4_PKS3_21rocsparse_index_base_.has_recursion, 0
	.set _ZN9rocsparseL23sddmm_ell_sample_kernelILi16ELi32E21rocsparse_complex_numIfElS2_EEvT2_S3_PKT3_lS3_PS4_PKS3_21rocsparse_index_base_.has_indirect_call, 0
	.section	.AMDGPU.csdata,"",@progbits
; Kernel info:
; codeLenInByte = 396
; TotalNumSgprs: 18
; NumVgprs: 12
; ScratchSize: 0
; MemoryBound: 0
; FloatMode: 240
; IeeeMode: 1
; LDSByteSize: 0 bytes/workgroup (compile time only)
; SGPRBlocks: 0
; VGPRBlocks: 0
; NumSGPRsForWavesPerEU: 18
; NumVGPRsForWavesPerEU: 12
; NamedBarCnt: 0
; Occupancy: 16
; WaveLimiterHint : 1
; COMPUTE_PGM_RSRC2:SCRATCH_EN: 0
; COMPUTE_PGM_RSRC2:USER_SGPR: 2
; COMPUTE_PGM_RSRC2:TRAP_HANDLER: 0
; COMPUTE_PGM_RSRC2:TGID_X_EN: 1
; COMPUTE_PGM_RSRC2:TGID_Y_EN: 0
; COMPUTE_PGM_RSRC2:TGID_Z_EN: 0
; COMPUTE_PGM_RSRC2:TIDIG_COMP_CNT: 0
	.section	.text._ZN9rocsparseL23sddmm_ell_sample_kernelILi16ELi64E21rocsparse_complex_numIfElS2_EEvT2_S3_PKT3_lS3_PS4_PKS3_21rocsparse_index_base_,"axG",@progbits,_ZN9rocsparseL23sddmm_ell_sample_kernelILi16ELi64E21rocsparse_complex_numIfElS2_EEvT2_S3_PKT3_lS3_PS4_PKS3_21rocsparse_index_base_,comdat
	.globl	_ZN9rocsparseL23sddmm_ell_sample_kernelILi16ELi64E21rocsparse_complex_numIfElS2_EEvT2_S3_PKT3_lS3_PS4_PKS3_21rocsparse_index_base_ ; -- Begin function _ZN9rocsparseL23sddmm_ell_sample_kernelILi16ELi64E21rocsparse_complex_numIfElS2_EEvT2_S3_PKT3_lS3_PS4_PKS3_21rocsparse_index_base_
	.p2align	8
	.type	_ZN9rocsparseL23sddmm_ell_sample_kernelILi16ELi64E21rocsparse_complex_numIfElS2_EEvT2_S3_PKT3_lS3_PS4_PKS3_21rocsparse_index_base_,@function
_ZN9rocsparseL23sddmm_ell_sample_kernelILi16ELi64E21rocsparse_complex_numIfElS2_EEvT2_S3_PKT3_lS3_PS4_PKS3_21rocsparse_index_base_: ; @_ZN9rocsparseL23sddmm_ell_sample_kernelILi16ELi64E21rocsparse_complex_numIfElS2_EEvT2_S3_PKT3_lS3_PS4_PKS3_21rocsparse_index_base_
; %bb.0:
	s_load_b128 s[8:11], s[0:1], 0x18
	s_bfe_u32 s2, ttmp6, 0x4000c
	s_and_b32 s3, ttmp6, 15
	s_add_co_i32 s2, s2, 1
	s_getreg_b32 s4, hwreg(HW_REG_IB_STS2, 6, 4)
	s_mul_i32 s2, ttmp9, s2
	v_dual_mov_b32 v1, 0 :: v_dual_lshrrev_b32 v2, 6, v0
	s_add_co_i32 s3, s3, s2
	s_cmp_eq_u32 s4, 0
	s_cselect_b32 s2, ttmp9, s3
	s_delay_alu instid0(VALU_DEP_1) | instskip(SKIP_3) | instid1(VALU_DEP_1)
	v_mov_b32_e32 v3, v1
	v_lshl_or_b32 v2, s2, 4, v2
	s_mov_b32 s2, exec_lo
	s_wait_kmcnt 0x0
	v_cmpx_gt_i64_e64 s[10:11], v[2:3]
	s_cbranch_execz .LBB49_6
; %bb.1:
	s_load_b128 s[4:7], s[0:1], 0x0
	v_and_b32_e32 v0, 63, v0
	s_wait_kmcnt 0x0
	s_delay_alu instid0(VALU_DEP_1)
	v_cmp_gt_i64_e32 vcc_lo, s[4:5], v[0:1]
	s_and_b32 exec_lo, exec_lo, vcc_lo
	s_cbranch_execz .LBB49_6
; %bb.2:
	v_mad_nc_u64_u32 v[4:5], s4, v2, v[0:1]
	s_clause 0x2
	s_load_b128 s[12:15], s[0:1], 0x28
	s_load_b64 s[10:11], s[0:1], 0x10
	s_load_b32 s2, s[0:1], 0x38
	v_dual_mov_b32 v7, 0 :: v_dual_lshlrev_b32 v6, 3, v0
	s_mov_b32 s3, 0
	s_lshl_b64 s[8:9], s[8:9], 3
	s_wait_xcnt 0x0
	s_mov_b32 s1, s3
	s_delay_alu instid0(VALU_DEP_2) | instskip(SKIP_2) | instid1(VALU_DEP_2)
	v_mad_u32 v5, s5, v2, v5
	s_wait_kmcnt 0x0
	v_add_nc_u64_e32 v[6:7], s[10:11], v[6:7]
	v_lshlrev_b64_e32 v[4:5], 3, v[4:5]
	s_delay_alu instid0(VALU_DEP_1)
	v_add_nc_u64_e32 v[2:3], s[14:15], v[4:5]
	v_add_nc_u64_e32 v[4:5], s[12:13], v[4:5]
	s_branch .LBB49_4
.LBB49_3:                               ;   in Loop: Header=BB49_4 Depth=1
	s_wait_xcnt 0x0
	s_or_b32 exec_lo, exec_lo, s0
	v_add_nc_u64_e32 v[0:1], 64, v[0:1]
	v_add_nc_u64_e32 v[2:3], 0x200, v[2:3]
	;; [unrolled: 1-line block ×4, first 2 shown]
	s_delay_alu instid0(VALU_DEP_4) | instskip(SKIP_1) | instid1(SALU_CYCLE_1)
	v_cmp_le_i64_e32 vcc_lo, s[4:5], v[0:1]
	s_or_b32 s1, vcc_lo, s1
	s_and_not1_b32 exec_lo, exec_lo, s1
	s_cbranch_execz .LBB49_6
.LBB49_4:                               ; =>This Inner Loop Header: Depth=1
	global_load_b64 v[8:9], v[2:3], off
	s_wait_loadcnt 0x0
	v_sub_nc_u64_e64 v[8:9], v[8:9], s[2:3]
	s_delay_alu instid0(VALU_DEP_1)
	v_cmp_lt_i64_e32 vcc_lo, -1, v[8:9]
	v_cmp_gt_i64_e64 s0, s[6:7], v[8:9]
	s_and_b32 s10, vcc_lo, s0
	s_wait_xcnt 0x0
	s_and_saveexec_b32 s0, s10
	s_cbranch_execz .LBB49_3
; %bb.5:                                ;   in Loop: Header=BB49_4 Depth=1
	v_mad_nc_u64_u32 v[10:11], s8, v8, v[6:7]
	s_delay_alu instid0(VALU_DEP_1) | instskip(NEXT) | instid1(VALU_DEP_1)
	v_mad_u32 v8, s9, v8, v11
	v_mad_u32 v11, s8, v9, v8
	global_load_b64 v[8:9], v[10:11], off
	s_wait_loadcnt 0x0
	global_store_b64 v[4:5], v[8:9], off
	s_branch .LBB49_3
.LBB49_6:
	s_endpgm
	.section	.rodata,"a",@progbits
	.p2align	6, 0x0
	.amdhsa_kernel _ZN9rocsparseL23sddmm_ell_sample_kernelILi16ELi64E21rocsparse_complex_numIfElS2_EEvT2_S3_PKT3_lS3_PS4_PKS3_21rocsparse_index_base_
		.amdhsa_group_segment_fixed_size 0
		.amdhsa_private_segment_fixed_size 0
		.amdhsa_kernarg_size 60
		.amdhsa_user_sgpr_count 2
		.amdhsa_user_sgpr_dispatch_ptr 0
		.amdhsa_user_sgpr_queue_ptr 0
		.amdhsa_user_sgpr_kernarg_segment_ptr 1
		.amdhsa_user_sgpr_dispatch_id 0
		.amdhsa_user_sgpr_kernarg_preload_length 0
		.amdhsa_user_sgpr_kernarg_preload_offset 0
		.amdhsa_user_sgpr_private_segment_size 0
		.amdhsa_wavefront_size32 1
		.amdhsa_uses_dynamic_stack 0
		.amdhsa_enable_private_segment 0
		.amdhsa_system_sgpr_workgroup_id_x 1
		.amdhsa_system_sgpr_workgroup_id_y 0
		.amdhsa_system_sgpr_workgroup_id_z 0
		.amdhsa_system_sgpr_workgroup_info 0
		.amdhsa_system_vgpr_workitem_id 0
		.amdhsa_next_free_vgpr 12
		.amdhsa_next_free_sgpr 16
		.amdhsa_named_barrier_count 0
		.amdhsa_reserve_vcc 1
		.amdhsa_float_round_mode_32 0
		.amdhsa_float_round_mode_16_64 0
		.amdhsa_float_denorm_mode_32 3
		.amdhsa_float_denorm_mode_16_64 3
		.amdhsa_fp16_overflow 0
		.amdhsa_memory_ordered 1
		.amdhsa_forward_progress 1
		.amdhsa_inst_pref_size 4
		.amdhsa_round_robin_scheduling 0
		.amdhsa_exception_fp_ieee_invalid_op 0
		.amdhsa_exception_fp_denorm_src 0
		.amdhsa_exception_fp_ieee_div_zero 0
		.amdhsa_exception_fp_ieee_overflow 0
		.amdhsa_exception_fp_ieee_underflow 0
		.amdhsa_exception_fp_ieee_inexact 0
		.amdhsa_exception_int_div_zero 0
	.end_amdhsa_kernel
	.section	.text._ZN9rocsparseL23sddmm_ell_sample_kernelILi16ELi64E21rocsparse_complex_numIfElS2_EEvT2_S3_PKT3_lS3_PS4_PKS3_21rocsparse_index_base_,"axG",@progbits,_ZN9rocsparseL23sddmm_ell_sample_kernelILi16ELi64E21rocsparse_complex_numIfElS2_EEvT2_S3_PKT3_lS3_PS4_PKS3_21rocsparse_index_base_,comdat
.Lfunc_end49:
	.size	_ZN9rocsparseL23sddmm_ell_sample_kernelILi16ELi64E21rocsparse_complex_numIfElS2_EEvT2_S3_PKT3_lS3_PS4_PKS3_21rocsparse_index_base_, .Lfunc_end49-_ZN9rocsparseL23sddmm_ell_sample_kernelILi16ELi64E21rocsparse_complex_numIfElS2_EEvT2_S3_PKT3_lS3_PS4_PKS3_21rocsparse_index_base_
                                        ; -- End function
	.set _ZN9rocsparseL23sddmm_ell_sample_kernelILi16ELi64E21rocsparse_complex_numIfElS2_EEvT2_S3_PKT3_lS3_PS4_PKS3_21rocsparse_index_base_.num_vgpr, 12
	.set _ZN9rocsparseL23sddmm_ell_sample_kernelILi16ELi64E21rocsparse_complex_numIfElS2_EEvT2_S3_PKT3_lS3_PS4_PKS3_21rocsparse_index_base_.num_agpr, 0
	.set _ZN9rocsparseL23sddmm_ell_sample_kernelILi16ELi64E21rocsparse_complex_numIfElS2_EEvT2_S3_PKT3_lS3_PS4_PKS3_21rocsparse_index_base_.numbered_sgpr, 16
	.set _ZN9rocsparseL23sddmm_ell_sample_kernelILi16ELi64E21rocsparse_complex_numIfElS2_EEvT2_S3_PKT3_lS3_PS4_PKS3_21rocsparse_index_base_.num_named_barrier, 0
	.set _ZN9rocsparseL23sddmm_ell_sample_kernelILi16ELi64E21rocsparse_complex_numIfElS2_EEvT2_S3_PKT3_lS3_PS4_PKS3_21rocsparse_index_base_.private_seg_size, 0
	.set _ZN9rocsparseL23sddmm_ell_sample_kernelILi16ELi64E21rocsparse_complex_numIfElS2_EEvT2_S3_PKT3_lS3_PS4_PKS3_21rocsparse_index_base_.uses_vcc, 1
	.set _ZN9rocsparseL23sddmm_ell_sample_kernelILi16ELi64E21rocsparse_complex_numIfElS2_EEvT2_S3_PKT3_lS3_PS4_PKS3_21rocsparse_index_base_.uses_flat_scratch, 0
	.set _ZN9rocsparseL23sddmm_ell_sample_kernelILi16ELi64E21rocsparse_complex_numIfElS2_EEvT2_S3_PKT3_lS3_PS4_PKS3_21rocsparse_index_base_.has_dyn_sized_stack, 0
	.set _ZN9rocsparseL23sddmm_ell_sample_kernelILi16ELi64E21rocsparse_complex_numIfElS2_EEvT2_S3_PKT3_lS3_PS4_PKS3_21rocsparse_index_base_.has_recursion, 0
	.set _ZN9rocsparseL23sddmm_ell_sample_kernelILi16ELi64E21rocsparse_complex_numIfElS2_EEvT2_S3_PKT3_lS3_PS4_PKS3_21rocsparse_index_base_.has_indirect_call, 0
	.section	.AMDGPU.csdata,"",@progbits
; Kernel info:
; codeLenInByte = 396
; TotalNumSgprs: 18
; NumVgprs: 12
; ScratchSize: 0
; MemoryBound: 0
; FloatMode: 240
; IeeeMode: 1
; LDSByteSize: 0 bytes/workgroup (compile time only)
; SGPRBlocks: 0
; VGPRBlocks: 0
; NumSGPRsForWavesPerEU: 18
; NumVGPRsForWavesPerEU: 12
; NamedBarCnt: 0
; Occupancy: 16
; WaveLimiterHint : 1
; COMPUTE_PGM_RSRC2:SCRATCH_EN: 0
; COMPUTE_PGM_RSRC2:USER_SGPR: 2
; COMPUTE_PGM_RSRC2:TRAP_HANDLER: 0
; COMPUTE_PGM_RSRC2:TGID_X_EN: 1
; COMPUTE_PGM_RSRC2:TGID_Y_EN: 0
; COMPUTE_PGM_RSRC2:TGID_Z_EN: 0
; COMPUTE_PGM_RSRC2:TIDIG_COMP_CNT: 0
	.section	.text._ZN9rocsparseL16sddmm_ell_kernelILi512ELi8E21rocsparse_complex_numIfEllS2_S2_S2_EEv20rocsparse_operation_S3_16rocsparse_order_S4_T3_S5_S5_T2_NS_24const_host_device_scalarIT1_EEPKT4_lPKT5_lS9_PT6_PKS5_21rocsparse_index_base_b,"axG",@progbits,_ZN9rocsparseL16sddmm_ell_kernelILi512ELi8E21rocsparse_complex_numIfEllS2_S2_S2_EEv20rocsparse_operation_S3_16rocsparse_order_S4_T3_S5_S5_T2_NS_24const_host_device_scalarIT1_EEPKT4_lPKT5_lS9_PT6_PKS5_21rocsparse_index_base_b,comdat
	.globl	_ZN9rocsparseL16sddmm_ell_kernelILi512ELi8E21rocsparse_complex_numIfEllS2_S2_S2_EEv20rocsparse_operation_S3_16rocsparse_order_S4_T3_S5_S5_T2_NS_24const_host_device_scalarIT1_EEPKT4_lPKT5_lS9_PT6_PKS5_21rocsparse_index_base_b ; -- Begin function _ZN9rocsparseL16sddmm_ell_kernelILi512ELi8E21rocsparse_complex_numIfEllS2_S2_S2_EEv20rocsparse_operation_S3_16rocsparse_order_S4_T3_S5_S5_T2_NS_24const_host_device_scalarIT1_EEPKT4_lPKT5_lS9_PT6_PKS5_21rocsparse_index_base_b
	.p2align	8
	.type	_ZN9rocsparseL16sddmm_ell_kernelILi512ELi8E21rocsparse_complex_numIfEllS2_S2_S2_EEv20rocsparse_operation_S3_16rocsparse_order_S4_T3_S5_S5_T2_NS_24const_host_device_scalarIT1_EEPKT4_lPKT5_lS9_PT6_PKS5_21rocsparse_index_base_b,@function
_ZN9rocsparseL16sddmm_ell_kernelILi512ELi8E21rocsparse_complex_numIfEllS2_S2_S2_EEv20rocsparse_operation_S3_16rocsparse_order_S4_T3_S5_S5_T2_NS_24const_host_device_scalarIT1_EEPKT4_lPKT5_lS9_PT6_PKS5_21rocsparse_index_base_b: ; @_ZN9rocsparseL16sddmm_ell_kernelILi512ELi8E21rocsparse_complex_numIfEllS2_S2_S2_EEv20rocsparse_operation_S3_16rocsparse_order_S4_T3_S5_S5_T2_NS_24const_host_device_scalarIT1_EEPKT4_lPKT5_lS9_PT6_PKS5_21rocsparse_index_base_b
; %bb.0:
	s_clause 0x2
	s_load_b64 s[12:13], s[0:1], 0x70
	s_load_b64 s[2:3], s[0:1], 0x30
	s_load_b128 s[8:11], s[0:1], 0x50
	v_mov_b32_e32 v1, 0
	s_add_nc_u64 s[4:5], s[0:1], 48
	s_wait_kmcnt 0x0
	s_bitcmp1_b32 s13, 0
	s_cselect_b32 s3, s5, s3
	s_cselect_b32 s2, s4, s2
	flat_load_b64 v[2:3], v1, s[2:3]
	s_wait_xcnt 0x0
	s_add_nc_u64 s[2:3], s[0:1], 0x58
	s_delay_alu instid0(SALU_CYCLE_1)
	s_cselect_b32 s3, s3, s11
	s_cselect_b32 s2, s2, s10
	flat_load_b64 v[4:5], v1, s[2:3]
	s_wait_xcnt 0x0
	s_mov_b32 s2, -1
	s_mov_b32 s3, exec_lo
	s_wait_loadcnt_dscnt 0x101
	v_bitop3_b32 v1, v2, 0x7fffffff, v3 bitop3:0xc8
	s_delay_alu instid0(VALU_DEP_1)
	v_cmpx_eq_u32_e32 0, v1
	s_cbranch_execz .LBB50_2
; %bb.1:
	s_wait_loadcnt_dscnt 0x0
	v_cmp_neq_f32_e32 vcc_lo, 1.0, v4
	v_cmp_neq_f32_e64 s2, 0, v5
	s_or_b32 s2, vcc_lo, s2
	s_delay_alu instid0(SALU_CYCLE_1)
	s_or_not1_b32 s2, s2, exec_lo
.LBB50_2:
	s_or_b32 exec_lo, exec_lo, s3
	s_and_saveexec_b32 s3, s2
	s_cbranch_execz .LBB50_37
; %bb.3:
	s_load_b128 s[4:7], s[0:1], 0x20
	s_bfe_u32 s2, ttmp6, 0x4000c
	s_and_b32 s3, ttmp6, 15
	s_add_co_i32 s2, s2, 1
	s_getreg_b32 s10, hwreg(HW_REG_IB_STS2, 6, 4)
	s_mul_i32 s2, ttmp9, s2
	v_dual_mov_b32 v7, 0 :: v_dual_lshrrev_b32 v16, 3, v0
	s_add_co_i32 s3, s3, s2
	s_cmp_eq_u32 s10, 0
	s_cselect_b32 s2, ttmp9, s3
	s_delay_alu instid0(VALU_DEP_1) | instid1(SALU_CYCLE_1)
	v_lshl_or_b32 v6, s2, 6, v16
	s_wait_kmcnt 0x0
	s_delay_alu instid0(VALU_DEP_1)
	v_cmp_gt_i64_e32 vcc_lo, s[6:7], v[6:7]
	s_and_b32 exec_lo, exec_lo, vcc_lo
	s_cbranch_execz .LBB50_37
; %bb.4:
	s_load_b64 s[6:7], s[0:1], 0x10
                                        ; implicit-def: $vgpr12_vgpr13
	s_wait_kmcnt 0x0
	s_and_b64 s[2:3], s[6:7], 0xffffffff00000000
	s_delay_alu instid0(SALU_CYCLE_1) | instskip(SKIP_1) | instid1(SALU_CYCLE_1)
	s_cmp_lg_u64 s[2:3], 0
	s_cselect_b32 s2, -1, 0
	s_and_saveexec_b32 s3, s2
	s_delay_alu instid0(SALU_CYCLE_1)
	s_xor_b32 s3, exec_lo, s3
	s_cbranch_execz .LBB50_6
; %bb.5:
	s_ashr_i32 s10, s7, 31
	s_mov_b32 s21, 0
	s_mov_b32 s11, s10
	v_add_nc_u64_e32 v[8:9], 0, v[6:7]
	s_add_nc_u64 s[14:15], s[6:7], s[10:11]
	v_mov_b32_e32 v11, 0
	s_xor_b64 s[10:11], s[14:15], s[10:11]
	s_delay_alu instid0(SALU_CYCLE_1) | instskip(SKIP_3) | instid1(SALU_CYCLE_1)
	s_cvt_f32_u32 s2, s10
	s_cvt_f32_u32 s7, s11
	s_sub_nc_u64 s[16:17], 0, s[10:11]
	v_mov_b32_e32 v10, v8
	s_fmamk_f32 s2, s7, 0x4f800000, s2
	s_delay_alu instid0(SALU_CYCLE_3) | instskip(NEXT) | instid1(TRANS32_DEP_1)
	v_s_rcp_f32 s2, s2
	s_mul_f32 s2, s2, 0x5f7ffffc
	s_delay_alu instid0(SALU_CYCLE_3) | instskip(NEXT) | instid1(SALU_CYCLE_3)
	s_mul_f32 s7, s2, 0x2f800000
	s_trunc_f32 s7, s7
	s_delay_alu instid0(SALU_CYCLE_3) | instskip(SKIP_1) | instid1(SALU_CYCLE_2)
	s_fmamk_f32 s2, s7, 0xcf800000, s2
	s_cvt_u32_f32 s15, s7
	s_cvt_u32_f32 s14, s2
	s_delay_alu instid0(SALU_CYCLE_3) | instskip(NEXT) | instid1(SALU_CYCLE_1)
	s_mul_u64 s[18:19], s[16:17], s[14:15]
	s_mul_hi_u32 s23, s14, s19
	s_mul_i32 s22, s14, s19
	s_mul_hi_u32 s20, s14, s18
	s_mul_i32 s7, s15, s18
	s_add_nc_u64 s[22:23], s[20:21], s[22:23]
	s_mul_hi_u32 s2, s15, s18
	s_mul_hi_u32 s13, s15, s19
	s_add_co_u32 s7, s22, s7
	s_add_co_ci_u32 s20, s23, s2
	s_mul_i32 s18, s15, s19
	s_add_co_ci_u32 s19, s13, 0
	s_delay_alu instid0(SALU_CYCLE_1) | instskip(NEXT) | instid1(SALU_CYCLE_1)
	s_add_nc_u64 s[18:19], s[20:21], s[18:19]
	s_add_co_u32 s14, s14, s18
	s_cselect_b32 s2, -1, 0
	s_delay_alu instid0(SALU_CYCLE_1) | instskip(SKIP_1) | instid1(SALU_CYCLE_1)
	s_cmp_lg_u32 s2, 0
	s_add_co_ci_u32 s15, s15, s19
	s_mul_u64 s[16:17], s[16:17], s[14:15]
	s_delay_alu instid0(SALU_CYCLE_1)
	s_mul_hi_u32 s19, s14, s17
	s_mul_i32 s18, s14, s17
	s_mul_hi_u32 s20, s14, s16
	s_mul_i32 s7, s15, s16
	s_add_nc_u64 s[18:19], s[20:21], s[18:19]
	s_mul_hi_u32 s2, s15, s16
	s_mul_hi_u32 s13, s15, s17
	s_add_co_u32 s7, s18, s7
	s_add_co_ci_u32 s20, s19, s2
	s_mul_i32 s16, s15, s17
	s_add_co_ci_u32 s17, s13, 0
	s_delay_alu instid0(SALU_CYCLE_1) | instskip(NEXT) | instid1(SALU_CYCLE_1)
	s_add_nc_u64 s[16:17], s[20:21], s[16:17]
	s_add_co_u32 s2, s14, s16
	s_cselect_b32 s7, -1, 0
	s_delay_alu instid0(SALU_CYCLE_1)
	s_cmp_lg_u32 s7, 0
	s_add_co_ci_u32 s20, s15, s17
	s_mov_b64 s[14:15], 0xffffffff
	v_mul_u64_e32 v[12:13], s[20:21], v[10:11]
	v_mul_hi_u32 v10, v8, s2
	s_and_b64 s[14:15], s[2:3], s[14:15]
	s_delay_alu instid0(VALU_DEP_1) | instskip(SKIP_1) | instid1(VALU_DEP_1)
	v_add_nc_u64_e32 v[12:13], v[10:11], v[12:13]
	v_mov_b32_e32 v10, v9
	v_mul_u64_e32 v[14:15], s[14:15], v[10:11]
	v_mul_u64_e32 v[18:19], s[20:21], v[10:11]
	s_delay_alu instid0(VALU_DEP_2) | instskip(NEXT) | instid1(VALU_DEP_3)
	v_add_co_u32 v1, vcc_lo, v12, v14
	v_add_co_ci_u32_e32 v10, vcc_lo, v13, v15, vcc_lo
	s_delay_alu instid0(VALU_DEP_3) | instskip(NEXT) | instid1(VALU_DEP_1)
	v_add_co_ci_u32_e32 v19, vcc_lo, 0, v19, vcc_lo
	v_add_nc_u64_e32 v[10:11], v[10:11], v[18:19]
	s_delay_alu instid0(VALU_DEP_1) | instskip(NEXT) | instid1(VALU_DEP_1)
	v_mul_u64_e32 v[10:11], s[10:11], v[10:11]
	v_sub_nc_u32_e32 v1, v9, v11
	s_delay_alu instid0(VALU_DEP_2) | instskip(NEXT) | instid1(VALU_DEP_1)
	v_sub_co_u32 v8, vcc_lo, v8, v10
	v_sub_co_ci_u32_e64 v9, null, v9, v11, vcc_lo
	s_delay_alu instid0(VALU_DEP_3) | instskip(NEXT) | instid1(VALU_DEP_3)
	v_subrev_co_ci_u32_e64 v1, null, s11, v1, vcc_lo
	v_sub_co_u32 v10, vcc_lo, v8, s10
	v_cmp_le_u32_e64 s2, s10, v8
	s_delay_alu instid0(VALU_DEP_3) | instskip(SKIP_1) | instid1(VALU_DEP_3)
	v_subrev_co_ci_u32_e64 v11, null, 0, v1, vcc_lo
	v_subrev_co_ci_u32_e64 v1, null, s11, v1, vcc_lo
	v_cndmask_b32_e64 v12, 0, -1, s2
	v_cmp_le_u32_e64 s2, s10, v10
	v_cmp_le_u32_e32 vcc_lo, s11, v9
	s_delay_alu instid0(VALU_DEP_2) | instskip(SKIP_3) | instid1(VALU_DEP_3)
	v_cndmask_b32_e64 v13, 0, -1, s2
	v_cmp_le_u32_e64 s2, s11, v11
	v_cndmask_b32_e64 v15, 0, -1, vcc_lo
	v_cmp_eq_u32_e32 vcc_lo, s11, v11
	v_cndmask_b32_e64 v14, 0, -1, s2
	v_cmp_eq_u32_e64 s2, s11, v9
	s_delay_alu instid0(VALU_DEP_1) | instskip(SKIP_1) | instid1(VALU_DEP_1)
	v_dual_cndmask_b32 v13, v14, v13, vcc_lo :: v_dual_cndmask_b32 v12, v15, v12, s2
	v_sub_co_u32 v14, vcc_lo, v10, s10
	v_subrev_co_ci_u32_e64 v1, null, 0, v1, vcc_lo
	s_delay_alu instid0(VALU_DEP_3) | instskip(NEXT) | instid1(VALU_DEP_2)
	v_cmp_ne_u32_e32 vcc_lo, 0, v13
	v_dual_cndmask_b32 v1, v11, v1 :: v_dual_cndmask_b32 v10, v10, v14
	v_cmp_ne_u32_e32 vcc_lo, 0, v12
	s_delay_alu instid0(VALU_DEP_2) | instskip(NEXT) | instid1(VALU_DEP_1)
	v_dual_cndmask_b32 v9, v9, v1 :: v_dual_cndmask_b32 v8, v8, v10
	v_sub_nc_u64_e64 v[12:13], v[8:9], 0
.LBB50_6:
	s_or_saveexec_b32 s7, s3
	s_load_b64 s[2:3], s[0:1], 0x68
	s_xor_b32 exec_lo, exec_lo, s7
	s_cbranch_execz .LBB50_8
; %bb.7:
	v_cvt_f32_u32_e32 v1, s6
	s_sub_co_i32 s10, 0, s6
	v_mov_b32_e32 v13, 0
	s_delay_alu instid0(VALU_DEP_2) | instskip(SKIP_1) | instid1(TRANS32_DEP_1)
	v_rcp_iflag_f32_e32 v1, v1
	v_nop
	v_mul_f32_e32 v1, 0x4f7ffffe, v1
	s_delay_alu instid0(VALU_DEP_1) | instskip(NEXT) | instid1(VALU_DEP_1)
	v_cvt_u32_f32_e32 v1, v1
	v_mul_lo_u32 v8, s10, v1
	s_delay_alu instid0(VALU_DEP_1) | instskip(NEXT) | instid1(VALU_DEP_1)
	v_mul_hi_u32 v8, v1, v8
	v_add_nc_u32_e32 v1, v1, v8
	s_delay_alu instid0(VALU_DEP_1) | instskip(NEXT) | instid1(VALU_DEP_1)
	v_mul_hi_u32 v1, v6, v1
	v_mul_lo_u32 v1, v1, s6
	s_delay_alu instid0(VALU_DEP_1) | instskip(NEXT) | instid1(VALU_DEP_1)
	v_sub_nc_u32_e32 v1, v6, v1
	v_subrev_nc_u32_e32 v8, s6, v1
	v_cmp_le_u32_e32 vcc_lo, s6, v1
	s_delay_alu instid0(VALU_DEP_2) | instskip(NEXT) | instid1(VALU_DEP_1)
	v_cndmask_b32_e32 v1, v1, v8, vcc_lo
	v_subrev_nc_u32_e32 v8, s6, v1
	v_cmp_le_u32_e32 vcc_lo, s6, v1
	s_delay_alu instid0(VALU_DEP_2)
	v_cndmask_b32_e32 v12, v1, v8, vcc_lo
.LBB50_8:
	s_or_b32 exec_lo, exec_lo, s7
	s_wait_kmcnt 0x0
	v_lshl_add_u64 v[8:9], v[6:7], 3, s[2:3]
	s_mov_b32 s13, 0
	global_load_b64 v[8:9], v[8:9], off
	s_wait_loadcnt 0x0
	v_sub_nc_u64_e64 v[10:11], v[8:9], s[12:13]
	s_delay_alu instid0(VALU_DEP_1)
	v_cmp_lt_i64_e32 vcc_lo, -1, v[10:11]
	s_and_b32 exec_lo, exec_lo, vcc_lo
	s_cbranch_execz .LBB50_37
; %bb.9:
	s_clause 0x1
	s_load_b128 s[12:15], s[0:1], 0x0
	s_load_b64 s[2:3], s[0:1], 0x40
	s_wait_kmcnt 0x0
	s_cmp_eq_u32 s14, 1
	s_cselect_b32 s6, -1, 0
	s_cmp_eq_u32 s12, 0x6f
	s_cselect_b32 s7, -1, 0
	s_cmp_lg_u32 s12, 0x6f
	s_cselect_b32 s10, -1, 0
	s_cmp_lg_u32 s14, 1
	s_cbranch_scc0 .LBB50_13
; %bb.10:
	v_mov_b64_e32 v[8:9], v[12:13]
	s_and_not1_b32 vcc_lo, exec_lo, s7
	s_cbranch_vccnz .LBB50_12
; %bb.11:
	v_mul_u64_e32 v[8:9], s[2:3], v[12:13]
.LBB50_12:
	s_cbranch_execz .LBB50_14
	s_branch .LBB50_17
.LBB50_13:
                                        ; implicit-def: $vgpr8_vgpr9
.LBB50_14:
	s_and_not1_b32 vcc_lo, exec_lo, s10
	s_cbranch_vccnz .LBB50_16
; %bb.15:
	v_mul_u64_e32 v[12:13], s[2:3], v[12:13]
.LBB50_16:
	s_delay_alu instid0(VALU_DEP_1)
	v_mov_b64_e32 v[8:9], v[12:13]
.LBB50_17:
	s_cmp_eq_u32 s15, 1
	s_cselect_b32 s11, -1, 0
	s_cmp_eq_u32 s13, 0x6f
	s_cselect_b32 s12, -1, 0
	s_cmp_lg_u32 s13, 0x6f
	s_cselect_b32 s10, -1, 0
	s_cmp_lg_u32 s15, 1
	s_cbranch_scc0 .LBB50_21
; %bb.18:
	v_mov_b64_e32 v[12:13], v[10:11]
	s_and_not1_b32 vcc_lo, exec_lo, s10
	s_cbranch_vccnz .LBB50_20
; %bb.19:
	v_mul_u64_e32 v[12:13], s[8:9], v[10:11]
.LBB50_20:
	s_cbranch_execz .LBB50_22
	s_branch .LBB50_25
.LBB50_21:
                                        ; implicit-def: $vgpr12_vgpr13
.LBB50_22:
	s_and_not1_b32 vcc_lo, exec_lo, s12
	s_cbranch_vccnz .LBB50_24
; %bb.23:
	v_mul_u64_e32 v[10:11], s[8:9], v[10:11]
.LBB50_24:
	s_delay_alu instid0(VALU_DEP_1)
	v_mov_b64_e32 v[12:13], v[10:11]
.LBB50_25:
	v_dual_mov_b32 v1, 0 :: v_dual_bitop2_b32 v0, 7, v0 bitop3:0x40
	s_mov_b32 s10, exec_lo
	s_delay_alu instid0(VALU_DEP_1) | instskip(NEXT) | instid1(VALU_DEP_2)
	v_dual_mov_b32 v11, v1 :: v_dual_mov_b32 v10, v1
	v_cmpx_gt_i64_e64 s[4:5], v[0:1]
	s_cbranch_execz .LBB50_29
; %bb.26:
	s_xor_b32 s6, s7, s6
	s_delay_alu instid0(VALU_DEP_4)
	v_lshlrev_b64_e32 v[12:13], 3, v[12:13]
	s_and_b32 s6, s6, exec_lo
	s_cselect_b32 s7, 0, s3
	s_cselect_b32 s6, 1, s2
	s_xor_b32 s2, s12, s11
	v_mul_u64_e32 v[14:15], s[6:7], v[0:1]
	s_and_b32 s2, s2, exec_lo
	s_cselect_b32 s3, s9, 0
	s_cselect_b32 s2, s8, 1
	s_clause 0x1
	s_load_b64 s[8:9], s[0:1], 0x48
	s_load_b64 s[12:13], s[0:1], 0x38
	v_mul_u64_e32 v[10:11], s[2:3], v[0:1]
	v_lshlrev_b64_e32 v[8:9], 3, v[8:9]
	s_lshl_b64 s[2:3], s[2:3], 6
	s_lshl_b64 s[6:7], s[6:7], 6
	s_delay_alu instid0(VALU_DEP_1) | instskip(NEXT) | instid1(VALU_DEP_3)
	v_lshl_add_u64 v[14:15], v[14:15], 3, v[8:9]
	v_lshl_add_u64 v[10:11], v[10:11], 3, v[12:13]
	s_wait_kmcnt 0x0
	s_delay_alu instid0(VALU_DEP_1) | instskip(SKIP_2) | instid1(VALU_DEP_1)
	v_add_nc_u64_e32 v[12:13], s[8:9], v[10:11]
	v_mov_b32_e32 v10, 0
	s_mov_b32 s8, 0
	v_mov_b32_e32 v11, v10
	s_delay_alu instid0(VALU_DEP_3)
	v_add_nc_u64_e32 v[8:9], 4, v[12:13]
	v_add_nc_u64_e32 v[12:13], s[12:13], v[14:15]
	v_mov_b64_e32 v[14:15], v[0:1]
.LBB50_27:                              ; =>This Inner Loop Header: Depth=1
	global_load_b64 v[18:19], v[12:13], off
	global_load_b64 v[20:21], v[8:9], off offset:-4
	v_add_nc_u64_e32 v[14:15], 8, v[14:15]
	s_wait_xcnt 0x0
	v_add_nc_u64_e32 v[8:9], s[2:3], v[8:9]
	v_add_nc_u64_e32 v[12:13], s[6:7], v[12:13]
	s_delay_alu instid0(VALU_DEP_3) | instskip(SKIP_3) | instid1(VALU_DEP_1)
	v_cmp_le_i64_e32 vcc_lo, s[4:5], v[14:15]
	s_or_b32 s8, vcc_lo, s8
	s_wait_loadcnt 0x0
	v_pk_mul_f32 v[22:23], v[20:21], v[18:19] op_sel:[1,1] op_sel_hi:[1,0] neg_lo:[0,1]
	v_pk_fma_f32 v[18:19], v[18:19], v[20:21], v[22:23] op_sel_hi:[1,0,1]
	s_delay_alu instid0(VALU_DEP_1)
	v_pk_add_f32 v[10:11], v[10:11], v[18:19]
	s_and_not1_b32 exec_lo, exec_lo, s8
	s_cbranch_execnz .LBB50_27
; %bb.28:
	s_or_b32 exec_lo, exec_lo, s8
.LBB50_29:
	s_delay_alu instid0(SALU_CYCLE_1) | instskip(SKIP_3) | instid1(VALU_DEP_1)
	s_or_b32 exec_lo, exec_lo, s10
	s_load_b64 s[0:1], s[0:1], 0x60
	v_lshlrev_b32_e32 v1, 6, v16
	s_mov_b32 s2, exec_lo
	v_lshl_or_b32 v8, v0, 3, v1
	ds_store_b64 v8, v[10:11]
	s_wait_dscnt 0x0
	s_barrier_signal -1
	s_barrier_wait -1
	v_cmpx_gt_u32_e32 4, v0
	s_cbranch_execz .LBB50_31
; %bb.30:
	ds_load_2addr_b64 v[10:13], v8 offset1:4
	s_wait_dscnt 0x0
	v_pk_add_f32 v[10:11], v[12:13], v[10:11]
	ds_store_b64 v8, v[10:11]
.LBB50_31:
	s_or_b32 exec_lo, exec_lo, s2
	s_delay_alu instid0(SALU_CYCLE_1)
	s_mov_b32 s2, exec_lo
	s_wait_dscnt 0x0
	s_barrier_signal -1
	s_barrier_wait -1
	v_cmpx_gt_u32_e32 2, v0
	s_cbranch_execz .LBB50_33
; %bb.32:
	ds_load_2addr_b64 v[10:13], v8 offset1:2
	s_wait_dscnt 0x0
	v_pk_add_f32 v[10:11], v[12:13], v[10:11]
	ds_store_b64 v8, v[10:11]
.LBB50_33:
	s_or_b32 exec_lo, exec_lo, s2
	v_cmp_eq_u32_e32 vcc_lo, 0, v0
	s_wait_dscnt 0x0
	s_barrier_signal -1
	s_barrier_wait -1
	s_and_saveexec_b32 s2, vcc_lo
	s_cbranch_execz .LBB50_35
; %bb.34:
	ds_load_2addr_b64 v[10:13], v8 offset1:1
	s_wait_dscnt 0x0
	v_pk_add_f32 v[10:11], v[12:13], v[10:11]
	ds_store_b64 v8, v[10:11]
.LBB50_35:
	s_or_b32 exec_lo, exec_lo, s2
	s_wait_dscnt 0x0
	s_barrier_signal -1
	s_barrier_wait -1
	s_and_b32 exec_lo, exec_lo, vcc_lo
	s_cbranch_execz .LBB50_37
; %bb.36:
	s_wait_kmcnt 0x0
	v_lshl_add_u64 v[6:7], v[6:7], 3, s[0:1]
	ds_load_b64 v[0:1], v1
	v_mov_b32_e32 v10, v5
	global_load_b64 v[8:9], v[6:7], off
	s_wait_dscnt 0x0
	v_pk_mul_f32 v[12:13], v[0:1], v[2:3] op_sel:[1,1] op_sel_hi:[1,0] neg_lo:[0,1]
	s_delay_alu instid0(VALU_DEP_1) | instskip(SKIP_2) | instid1(VALU_DEP_1)
	v_pk_fma_f32 v[0:1], v[2:3], v[0:1], v[12:13] op_sel_hi:[1,0,1]
	s_wait_loadcnt 0x0
	v_pk_mul_f32 v[10:11], v[10:11], v[8:9] op_sel:[0,1] op_sel_hi:[0,0] neg_lo:[0,1]
	v_pk_fma_f32 v[4:5], v[8:9], v[4:5], v[10:11] op_sel_hi:[1,0,1]
	s_delay_alu instid0(VALU_DEP_1)
	v_pk_add_f32 v[0:1], v[0:1], v[4:5]
	global_store_b64 v[6:7], v[0:1], off
.LBB50_37:
	s_endpgm
	.section	.rodata,"a",@progbits
	.p2align	6, 0x0
	.amdhsa_kernel _ZN9rocsparseL16sddmm_ell_kernelILi512ELi8E21rocsparse_complex_numIfEllS2_S2_S2_EEv20rocsparse_operation_S3_16rocsparse_order_S4_T3_S5_S5_T2_NS_24const_host_device_scalarIT1_EEPKT4_lPKT5_lS9_PT6_PKS5_21rocsparse_index_base_b
		.amdhsa_group_segment_fixed_size 4096
		.amdhsa_private_segment_fixed_size 0
		.amdhsa_kernarg_size 120
		.amdhsa_user_sgpr_count 2
		.amdhsa_user_sgpr_dispatch_ptr 0
		.amdhsa_user_sgpr_queue_ptr 0
		.amdhsa_user_sgpr_kernarg_segment_ptr 1
		.amdhsa_user_sgpr_dispatch_id 0
		.amdhsa_user_sgpr_kernarg_preload_length 0
		.amdhsa_user_sgpr_kernarg_preload_offset 0
		.amdhsa_user_sgpr_private_segment_size 0
		.amdhsa_wavefront_size32 1
		.amdhsa_uses_dynamic_stack 0
		.amdhsa_enable_private_segment 0
		.amdhsa_system_sgpr_workgroup_id_x 1
		.amdhsa_system_sgpr_workgroup_id_y 0
		.amdhsa_system_sgpr_workgroup_id_z 0
		.amdhsa_system_sgpr_workgroup_info 0
		.amdhsa_system_vgpr_workitem_id 0
		.amdhsa_next_free_vgpr 24
		.amdhsa_next_free_sgpr 24
		.amdhsa_named_barrier_count 0
		.amdhsa_reserve_vcc 1
		.amdhsa_float_round_mode_32 0
		.amdhsa_float_round_mode_16_64 0
		.amdhsa_float_denorm_mode_32 3
		.amdhsa_float_denorm_mode_16_64 3
		.amdhsa_fp16_overflow 0
		.amdhsa_memory_ordered 1
		.amdhsa_forward_progress 1
		.amdhsa_inst_pref_size 15
		.amdhsa_round_robin_scheduling 0
		.amdhsa_exception_fp_ieee_invalid_op 0
		.amdhsa_exception_fp_denorm_src 0
		.amdhsa_exception_fp_ieee_div_zero 0
		.amdhsa_exception_fp_ieee_overflow 0
		.amdhsa_exception_fp_ieee_underflow 0
		.amdhsa_exception_fp_ieee_inexact 0
		.amdhsa_exception_int_div_zero 0
	.end_amdhsa_kernel
	.section	.text._ZN9rocsparseL16sddmm_ell_kernelILi512ELi8E21rocsparse_complex_numIfEllS2_S2_S2_EEv20rocsparse_operation_S3_16rocsparse_order_S4_T3_S5_S5_T2_NS_24const_host_device_scalarIT1_EEPKT4_lPKT5_lS9_PT6_PKS5_21rocsparse_index_base_b,"axG",@progbits,_ZN9rocsparseL16sddmm_ell_kernelILi512ELi8E21rocsparse_complex_numIfEllS2_S2_S2_EEv20rocsparse_operation_S3_16rocsparse_order_S4_T3_S5_S5_T2_NS_24const_host_device_scalarIT1_EEPKT4_lPKT5_lS9_PT6_PKS5_21rocsparse_index_base_b,comdat
.Lfunc_end50:
	.size	_ZN9rocsparseL16sddmm_ell_kernelILi512ELi8E21rocsparse_complex_numIfEllS2_S2_S2_EEv20rocsparse_operation_S3_16rocsparse_order_S4_T3_S5_S5_T2_NS_24const_host_device_scalarIT1_EEPKT4_lPKT5_lS9_PT6_PKS5_21rocsparse_index_base_b, .Lfunc_end50-_ZN9rocsparseL16sddmm_ell_kernelILi512ELi8E21rocsparse_complex_numIfEllS2_S2_S2_EEv20rocsparse_operation_S3_16rocsparse_order_S4_T3_S5_S5_T2_NS_24const_host_device_scalarIT1_EEPKT4_lPKT5_lS9_PT6_PKS5_21rocsparse_index_base_b
                                        ; -- End function
	.set _ZN9rocsparseL16sddmm_ell_kernelILi512ELi8E21rocsparse_complex_numIfEllS2_S2_S2_EEv20rocsparse_operation_S3_16rocsparse_order_S4_T3_S5_S5_T2_NS_24const_host_device_scalarIT1_EEPKT4_lPKT5_lS9_PT6_PKS5_21rocsparse_index_base_b.num_vgpr, 24
	.set _ZN9rocsparseL16sddmm_ell_kernelILi512ELi8E21rocsparse_complex_numIfEllS2_S2_S2_EEv20rocsparse_operation_S3_16rocsparse_order_S4_T3_S5_S5_T2_NS_24const_host_device_scalarIT1_EEPKT4_lPKT5_lS9_PT6_PKS5_21rocsparse_index_base_b.num_agpr, 0
	.set _ZN9rocsparseL16sddmm_ell_kernelILi512ELi8E21rocsparse_complex_numIfEllS2_S2_S2_EEv20rocsparse_operation_S3_16rocsparse_order_S4_T3_S5_S5_T2_NS_24const_host_device_scalarIT1_EEPKT4_lPKT5_lS9_PT6_PKS5_21rocsparse_index_base_b.numbered_sgpr, 24
	.set _ZN9rocsparseL16sddmm_ell_kernelILi512ELi8E21rocsparse_complex_numIfEllS2_S2_S2_EEv20rocsparse_operation_S3_16rocsparse_order_S4_T3_S5_S5_T2_NS_24const_host_device_scalarIT1_EEPKT4_lPKT5_lS9_PT6_PKS5_21rocsparse_index_base_b.num_named_barrier, 0
	.set _ZN9rocsparseL16sddmm_ell_kernelILi512ELi8E21rocsparse_complex_numIfEllS2_S2_S2_EEv20rocsparse_operation_S3_16rocsparse_order_S4_T3_S5_S5_T2_NS_24const_host_device_scalarIT1_EEPKT4_lPKT5_lS9_PT6_PKS5_21rocsparse_index_base_b.private_seg_size, 0
	.set _ZN9rocsparseL16sddmm_ell_kernelILi512ELi8E21rocsparse_complex_numIfEllS2_S2_S2_EEv20rocsparse_operation_S3_16rocsparse_order_S4_T3_S5_S5_T2_NS_24const_host_device_scalarIT1_EEPKT4_lPKT5_lS9_PT6_PKS5_21rocsparse_index_base_b.uses_vcc, 1
	.set _ZN9rocsparseL16sddmm_ell_kernelILi512ELi8E21rocsparse_complex_numIfEllS2_S2_S2_EEv20rocsparse_operation_S3_16rocsparse_order_S4_T3_S5_S5_T2_NS_24const_host_device_scalarIT1_EEPKT4_lPKT5_lS9_PT6_PKS5_21rocsparse_index_base_b.uses_flat_scratch, 0
	.set _ZN9rocsparseL16sddmm_ell_kernelILi512ELi8E21rocsparse_complex_numIfEllS2_S2_S2_EEv20rocsparse_operation_S3_16rocsparse_order_S4_T3_S5_S5_T2_NS_24const_host_device_scalarIT1_EEPKT4_lPKT5_lS9_PT6_PKS5_21rocsparse_index_base_b.has_dyn_sized_stack, 0
	.set _ZN9rocsparseL16sddmm_ell_kernelILi512ELi8E21rocsparse_complex_numIfEllS2_S2_S2_EEv20rocsparse_operation_S3_16rocsparse_order_S4_T3_S5_S5_T2_NS_24const_host_device_scalarIT1_EEPKT4_lPKT5_lS9_PT6_PKS5_21rocsparse_index_base_b.has_recursion, 0
	.set _ZN9rocsparseL16sddmm_ell_kernelILi512ELi8E21rocsparse_complex_numIfEllS2_S2_S2_EEv20rocsparse_operation_S3_16rocsparse_order_S4_T3_S5_S5_T2_NS_24const_host_device_scalarIT1_EEPKT4_lPKT5_lS9_PT6_PKS5_21rocsparse_index_base_b.has_indirect_call, 0
	.section	.AMDGPU.csdata,"",@progbits
; Kernel info:
; codeLenInByte = 1888
; TotalNumSgprs: 26
; NumVgprs: 24
; ScratchSize: 0
; MemoryBound: 0
; FloatMode: 240
; IeeeMode: 1
; LDSByteSize: 4096 bytes/workgroup (compile time only)
; SGPRBlocks: 0
; VGPRBlocks: 1
; NumSGPRsForWavesPerEU: 26
; NumVGPRsForWavesPerEU: 24
; NamedBarCnt: 0
; Occupancy: 16
; WaveLimiterHint : 0
; COMPUTE_PGM_RSRC2:SCRATCH_EN: 0
; COMPUTE_PGM_RSRC2:USER_SGPR: 2
; COMPUTE_PGM_RSRC2:TRAP_HANDLER: 0
; COMPUTE_PGM_RSRC2:TGID_X_EN: 1
; COMPUTE_PGM_RSRC2:TGID_Y_EN: 0
; COMPUTE_PGM_RSRC2:TGID_Z_EN: 0
; COMPUTE_PGM_RSRC2:TIDIG_COMP_CNT: 0
	.section	.text._ZN9rocsparseL16sddmm_ell_kernelILi512ELi4E21rocsparse_complex_numIfEllS2_S2_S2_EEv20rocsparse_operation_S3_16rocsparse_order_S4_T3_S5_S5_T2_NS_24const_host_device_scalarIT1_EEPKT4_lPKT5_lS9_PT6_PKS5_21rocsparse_index_base_b,"axG",@progbits,_ZN9rocsparseL16sddmm_ell_kernelILi512ELi4E21rocsparse_complex_numIfEllS2_S2_S2_EEv20rocsparse_operation_S3_16rocsparse_order_S4_T3_S5_S5_T2_NS_24const_host_device_scalarIT1_EEPKT4_lPKT5_lS9_PT6_PKS5_21rocsparse_index_base_b,comdat
	.globl	_ZN9rocsparseL16sddmm_ell_kernelILi512ELi4E21rocsparse_complex_numIfEllS2_S2_S2_EEv20rocsparse_operation_S3_16rocsparse_order_S4_T3_S5_S5_T2_NS_24const_host_device_scalarIT1_EEPKT4_lPKT5_lS9_PT6_PKS5_21rocsparse_index_base_b ; -- Begin function _ZN9rocsparseL16sddmm_ell_kernelILi512ELi4E21rocsparse_complex_numIfEllS2_S2_S2_EEv20rocsparse_operation_S3_16rocsparse_order_S4_T3_S5_S5_T2_NS_24const_host_device_scalarIT1_EEPKT4_lPKT5_lS9_PT6_PKS5_21rocsparse_index_base_b
	.p2align	8
	.type	_ZN9rocsparseL16sddmm_ell_kernelILi512ELi4E21rocsparse_complex_numIfEllS2_S2_S2_EEv20rocsparse_operation_S3_16rocsparse_order_S4_T3_S5_S5_T2_NS_24const_host_device_scalarIT1_EEPKT4_lPKT5_lS9_PT6_PKS5_21rocsparse_index_base_b,@function
_ZN9rocsparseL16sddmm_ell_kernelILi512ELi4E21rocsparse_complex_numIfEllS2_S2_S2_EEv20rocsparse_operation_S3_16rocsparse_order_S4_T3_S5_S5_T2_NS_24const_host_device_scalarIT1_EEPKT4_lPKT5_lS9_PT6_PKS5_21rocsparse_index_base_b: ; @_ZN9rocsparseL16sddmm_ell_kernelILi512ELi4E21rocsparse_complex_numIfEllS2_S2_S2_EEv20rocsparse_operation_S3_16rocsparse_order_S4_T3_S5_S5_T2_NS_24const_host_device_scalarIT1_EEPKT4_lPKT5_lS9_PT6_PKS5_21rocsparse_index_base_b
; %bb.0:
	s_clause 0x2
	s_load_b64 s[12:13], s[0:1], 0x70
	s_load_b64 s[2:3], s[0:1], 0x30
	s_load_b128 s[8:11], s[0:1], 0x50
	v_mov_b32_e32 v1, 0
	s_add_nc_u64 s[4:5], s[0:1], 48
	s_wait_kmcnt 0x0
	s_bitcmp1_b32 s13, 0
	s_cselect_b32 s3, s5, s3
	s_cselect_b32 s2, s4, s2
	flat_load_b64 v[2:3], v1, s[2:3]
	s_wait_xcnt 0x0
	s_add_nc_u64 s[2:3], s[0:1], 0x58
	s_delay_alu instid0(SALU_CYCLE_1)
	s_cselect_b32 s3, s3, s11
	s_cselect_b32 s2, s2, s10
	flat_load_b64 v[4:5], v1, s[2:3]
	s_wait_xcnt 0x0
	s_mov_b32 s2, -1
	s_mov_b32 s3, exec_lo
	s_wait_loadcnt_dscnt 0x101
	v_bitop3_b32 v1, v2, 0x7fffffff, v3 bitop3:0xc8
	s_delay_alu instid0(VALU_DEP_1)
	v_cmpx_eq_u32_e32 0, v1
	s_cbranch_execz .LBB51_2
; %bb.1:
	s_wait_loadcnt_dscnt 0x0
	v_cmp_neq_f32_e32 vcc_lo, 1.0, v4
	v_cmp_neq_f32_e64 s2, 0, v5
	s_or_b32 s2, vcc_lo, s2
	s_delay_alu instid0(SALU_CYCLE_1)
	s_or_not1_b32 s2, s2, exec_lo
.LBB51_2:
	s_or_b32 exec_lo, exec_lo, s3
	s_and_saveexec_b32 s3, s2
	s_cbranch_execz .LBB51_35
; %bb.3:
	s_load_b128 s[4:7], s[0:1], 0x20
	s_bfe_u32 s2, ttmp6, 0x4000c
	s_and_b32 s3, ttmp6, 15
	s_add_co_i32 s2, s2, 1
	s_getreg_b32 s10, hwreg(HW_REG_IB_STS2, 6, 4)
	s_mul_i32 s2, ttmp9, s2
	v_dual_mov_b32 v7, 0 :: v_dual_lshrrev_b32 v16, 2, v0
	s_add_co_i32 s3, s3, s2
	s_cmp_eq_u32 s10, 0
	s_cselect_b32 s2, ttmp9, s3
	s_delay_alu instid0(VALU_DEP_1) | instid1(SALU_CYCLE_1)
	v_lshl_or_b32 v6, s2, 7, v16
	s_wait_kmcnt 0x0
	s_delay_alu instid0(VALU_DEP_1)
	v_cmp_gt_i64_e32 vcc_lo, s[6:7], v[6:7]
	s_and_b32 exec_lo, exec_lo, vcc_lo
	s_cbranch_execz .LBB51_35
; %bb.4:
	s_load_b64 s[6:7], s[0:1], 0x10
                                        ; implicit-def: $vgpr12_vgpr13
	s_wait_kmcnt 0x0
	s_and_b64 s[2:3], s[6:7], 0xffffffff00000000
	s_delay_alu instid0(SALU_CYCLE_1) | instskip(SKIP_1) | instid1(SALU_CYCLE_1)
	s_cmp_lg_u64 s[2:3], 0
	s_cselect_b32 s2, -1, 0
	s_and_saveexec_b32 s3, s2
	s_delay_alu instid0(SALU_CYCLE_1)
	s_xor_b32 s3, exec_lo, s3
	s_cbranch_execz .LBB51_6
; %bb.5:
	s_ashr_i32 s10, s7, 31
	s_mov_b32 s21, 0
	s_mov_b32 s11, s10
	v_add_nc_u64_e32 v[8:9], 0, v[6:7]
	s_add_nc_u64 s[14:15], s[6:7], s[10:11]
	v_mov_b32_e32 v11, 0
	s_xor_b64 s[10:11], s[14:15], s[10:11]
	s_delay_alu instid0(SALU_CYCLE_1) | instskip(SKIP_3) | instid1(SALU_CYCLE_1)
	s_cvt_f32_u32 s2, s10
	s_cvt_f32_u32 s7, s11
	s_sub_nc_u64 s[16:17], 0, s[10:11]
	v_mov_b32_e32 v10, v8
	s_fmamk_f32 s2, s7, 0x4f800000, s2
	s_delay_alu instid0(SALU_CYCLE_3) | instskip(NEXT) | instid1(TRANS32_DEP_1)
	v_s_rcp_f32 s2, s2
	s_mul_f32 s2, s2, 0x5f7ffffc
	s_delay_alu instid0(SALU_CYCLE_3) | instskip(NEXT) | instid1(SALU_CYCLE_3)
	s_mul_f32 s7, s2, 0x2f800000
	s_trunc_f32 s7, s7
	s_delay_alu instid0(SALU_CYCLE_3) | instskip(SKIP_1) | instid1(SALU_CYCLE_2)
	s_fmamk_f32 s2, s7, 0xcf800000, s2
	s_cvt_u32_f32 s15, s7
	s_cvt_u32_f32 s14, s2
	s_delay_alu instid0(SALU_CYCLE_3) | instskip(NEXT) | instid1(SALU_CYCLE_1)
	s_mul_u64 s[18:19], s[16:17], s[14:15]
	s_mul_hi_u32 s23, s14, s19
	s_mul_i32 s22, s14, s19
	s_mul_hi_u32 s20, s14, s18
	s_mul_i32 s7, s15, s18
	s_add_nc_u64 s[22:23], s[20:21], s[22:23]
	s_mul_hi_u32 s2, s15, s18
	s_mul_hi_u32 s13, s15, s19
	s_add_co_u32 s7, s22, s7
	s_add_co_ci_u32 s20, s23, s2
	s_mul_i32 s18, s15, s19
	s_add_co_ci_u32 s19, s13, 0
	s_delay_alu instid0(SALU_CYCLE_1) | instskip(NEXT) | instid1(SALU_CYCLE_1)
	s_add_nc_u64 s[18:19], s[20:21], s[18:19]
	s_add_co_u32 s14, s14, s18
	s_cselect_b32 s2, -1, 0
	s_delay_alu instid0(SALU_CYCLE_1) | instskip(SKIP_1) | instid1(SALU_CYCLE_1)
	s_cmp_lg_u32 s2, 0
	s_add_co_ci_u32 s15, s15, s19
	s_mul_u64 s[16:17], s[16:17], s[14:15]
	s_delay_alu instid0(SALU_CYCLE_1)
	s_mul_hi_u32 s19, s14, s17
	s_mul_i32 s18, s14, s17
	s_mul_hi_u32 s20, s14, s16
	s_mul_i32 s7, s15, s16
	s_add_nc_u64 s[18:19], s[20:21], s[18:19]
	s_mul_hi_u32 s2, s15, s16
	s_mul_hi_u32 s13, s15, s17
	s_add_co_u32 s7, s18, s7
	s_add_co_ci_u32 s20, s19, s2
	s_mul_i32 s16, s15, s17
	s_add_co_ci_u32 s17, s13, 0
	s_delay_alu instid0(SALU_CYCLE_1) | instskip(NEXT) | instid1(SALU_CYCLE_1)
	s_add_nc_u64 s[16:17], s[20:21], s[16:17]
	s_add_co_u32 s2, s14, s16
	s_cselect_b32 s7, -1, 0
	s_delay_alu instid0(SALU_CYCLE_1)
	s_cmp_lg_u32 s7, 0
	s_add_co_ci_u32 s20, s15, s17
	s_mov_b64 s[14:15], 0xffffffff
	v_mul_u64_e32 v[12:13], s[20:21], v[10:11]
	v_mul_hi_u32 v10, v8, s2
	s_and_b64 s[14:15], s[2:3], s[14:15]
	s_delay_alu instid0(VALU_DEP_1) | instskip(SKIP_1) | instid1(VALU_DEP_1)
	v_add_nc_u64_e32 v[12:13], v[10:11], v[12:13]
	v_mov_b32_e32 v10, v9
	v_mul_u64_e32 v[14:15], s[14:15], v[10:11]
	v_mul_u64_e32 v[18:19], s[20:21], v[10:11]
	s_delay_alu instid0(VALU_DEP_2) | instskip(NEXT) | instid1(VALU_DEP_3)
	v_add_co_u32 v1, vcc_lo, v12, v14
	v_add_co_ci_u32_e32 v10, vcc_lo, v13, v15, vcc_lo
	s_delay_alu instid0(VALU_DEP_3) | instskip(NEXT) | instid1(VALU_DEP_1)
	v_add_co_ci_u32_e32 v19, vcc_lo, 0, v19, vcc_lo
	v_add_nc_u64_e32 v[10:11], v[10:11], v[18:19]
	s_delay_alu instid0(VALU_DEP_1) | instskip(NEXT) | instid1(VALU_DEP_1)
	v_mul_u64_e32 v[10:11], s[10:11], v[10:11]
	v_sub_nc_u32_e32 v1, v9, v11
	s_delay_alu instid0(VALU_DEP_2) | instskip(NEXT) | instid1(VALU_DEP_1)
	v_sub_co_u32 v8, vcc_lo, v8, v10
	v_sub_co_ci_u32_e64 v9, null, v9, v11, vcc_lo
	s_delay_alu instid0(VALU_DEP_3) | instskip(NEXT) | instid1(VALU_DEP_3)
	v_subrev_co_ci_u32_e64 v1, null, s11, v1, vcc_lo
	v_sub_co_u32 v10, vcc_lo, v8, s10
	v_cmp_le_u32_e64 s2, s10, v8
	s_delay_alu instid0(VALU_DEP_3) | instskip(SKIP_1) | instid1(VALU_DEP_3)
	v_subrev_co_ci_u32_e64 v11, null, 0, v1, vcc_lo
	v_subrev_co_ci_u32_e64 v1, null, s11, v1, vcc_lo
	v_cndmask_b32_e64 v12, 0, -1, s2
	v_cmp_le_u32_e64 s2, s10, v10
	v_cmp_le_u32_e32 vcc_lo, s11, v9
	s_delay_alu instid0(VALU_DEP_2) | instskip(SKIP_3) | instid1(VALU_DEP_3)
	v_cndmask_b32_e64 v13, 0, -1, s2
	v_cmp_le_u32_e64 s2, s11, v11
	v_cndmask_b32_e64 v15, 0, -1, vcc_lo
	v_cmp_eq_u32_e32 vcc_lo, s11, v11
	v_cndmask_b32_e64 v14, 0, -1, s2
	v_cmp_eq_u32_e64 s2, s11, v9
	s_delay_alu instid0(VALU_DEP_1) | instskip(SKIP_1) | instid1(VALU_DEP_1)
	v_dual_cndmask_b32 v13, v14, v13, vcc_lo :: v_dual_cndmask_b32 v12, v15, v12, s2
	v_sub_co_u32 v14, vcc_lo, v10, s10
	v_subrev_co_ci_u32_e64 v1, null, 0, v1, vcc_lo
	s_delay_alu instid0(VALU_DEP_3) | instskip(NEXT) | instid1(VALU_DEP_2)
	v_cmp_ne_u32_e32 vcc_lo, 0, v13
	v_dual_cndmask_b32 v1, v11, v1 :: v_dual_cndmask_b32 v10, v10, v14
	v_cmp_ne_u32_e32 vcc_lo, 0, v12
	s_delay_alu instid0(VALU_DEP_2) | instskip(NEXT) | instid1(VALU_DEP_1)
	v_dual_cndmask_b32 v9, v9, v1 :: v_dual_cndmask_b32 v8, v8, v10
	v_sub_nc_u64_e64 v[12:13], v[8:9], 0
.LBB51_6:
	s_or_saveexec_b32 s7, s3
	s_load_b64 s[2:3], s[0:1], 0x68
	s_xor_b32 exec_lo, exec_lo, s7
	s_cbranch_execz .LBB51_8
; %bb.7:
	v_cvt_f32_u32_e32 v1, s6
	s_sub_co_i32 s10, 0, s6
	v_mov_b32_e32 v13, 0
	s_delay_alu instid0(VALU_DEP_2) | instskip(SKIP_1) | instid1(TRANS32_DEP_1)
	v_rcp_iflag_f32_e32 v1, v1
	v_nop
	v_mul_f32_e32 v1, 0x4f7ffffe, v1
	s_delay_alu instid0(VALU_DEP_1) | instskip(NEXT) | instid1(VALU_DEP_1)
	v_cvt_u32_f32_e32 v1, v1
	v_mul_lo_u32 v8, s10, v1
	s_delay_alu instid0(VALU_DEP_1) | instskip(NEXT) | instid1(VALU_DEP_1)
	v_mul_hi_u32 v8, v1, v8
	v_add_nc_u32_e32 v1, v1, v8
	s_delay_alu instid0(VALU_DEP_1) | instskip(NEXT) | instid1(VALU_DEP_1)
	v_mul_hi_u32 v1, v6, v1
	v_mul_lo_u32 v1, v1, s6
	s_delay_alu instid0(VALU_DEP_1) | instskip(NEXT) | instid1(VALU_DEP_1)
	v_sub_nc_u32_e32 v1, v6, v1
	v_subrev_nc_u32_e32 v8, s6, v1
	v_cmp_le_u32_e32 vcc_lo, s6, v1
	s_delay_alu instid0(VALU_DEP_2) | instskip(NEXT) | instid1(VALU_DEP_1)
	v_cndmask_b32_e32 v1, v1, v8, vcc_lo
	v_subrev_nc_u32_e32 v8, s6, v1
	v_cmp_le_u32_e32 vcc_lo, s6, v1
	s_delay_alu instid0(VALU_DEP_2)
	v_cndmask_b32_e32 v12, v1, v8, vcc_lo
.LBB51_8:
	s_or_b32 exec_lo, exec_lo, s7
	s_wait_kmcnt 0x0
	v_lshl_add_u64 v[8:9], v[6:7], 3, s[2:3]
	s_mov_b32 s13, 0
	global_load_b64 v[8:9], v[8:9], off
	s_wait_loadcnt 0x0
	v_sub_nc_u64_e64 v[10:11], v[8:9], s[12:13]
	s_delay_alu instid0(VALU_DEP_1)
	v_cmp_lt_i64_e32 vcc_lo, -1, v[10:11]
	s_and_b32 exec_lo, exec_lo, vcc_lo
	s_cbranch_execz .LBB51_35
; %bb.9:
	s_clause 0x1
	s_load_b128 s[12:15], s[0:1], 0x0
	s_load_b64 s[2:3], s[0:1], 0x40
	s_wait_kmcnt 0x0
	s_cmp_eq_u32 s14, 1
	s_cselect_b32 s6, -1, 0
	s_cmp_eq_u32 s12, 0x6f
	s_cselect_b32 s7, -1, 0
	s_cmp_lg_u32 s12, 0x6f
	s_cselect_b32 s10, -1, 0
	s_cmp_lg_u32 s14, 1
	s_cbranch_scc0 .LBB51_13
; %bb.10:
	v_mov_b64_e32 v[8:9], v[12:13]
	s_and_not1_b32 vcc_lo, exec_lo, s7
	s_cbranch_vccnz .LBB51_12
; %bb.11:
	v_mul_u64_e32 v[8:9], s[2:3], v[12:13]
.LBB51_12:
	s_cbranch_execz .LBB51_14
	s_branch .LBB51_17
.LBB51_13:
                                        ; implicit-def: $vgpr8_vgpr9
.LBB51_14:
	s_and_not1_b32 vcc_lo, exec_lo, s10
	s_cbranch_vccnz .LBB51_16
; %bb.15:
	v_mul_u64_e32 v[12:13], s[2:3], v[12:13]
.LBB51_16:
	s_delay_alu instid0(VALU_DEP_1)
	v_mov_b64_e32 v[8:9], v[12:13]
.LBB51_17:
	s_cmp_eq_u32 s15, 1
	s_cselect_b32 s11, -1, 0
	s_cmp_eq_u32 s13, 0x6f
	s_cselect_b32 s12, -1, 0
	s_cmp_lg_u32 s13, 0x6f
	s_cselect_b32 s10, -1, 0
	s_cmp_lg_u32 s15, 1
	s_cbranch_scc0 .LBB51_21
; %bb.18:
	v_mov_b64_e32 v[12:13], v[10:11]
	s_and_not1_b32 vcc_lo, exec_lo, s10
	s_cbranch_vccnz .LBB51_20
; %bb.19:
	v_mul_u64_e32 v[12:13], s[8:9], v[10:11]
.LBB51_20:
	s_cbranch_execz .LBB51_22
	s_branch .LBB51_25
.LBB51_21:
                                        ; implicit-def: $vgpr12_vgpr13
.LBB51_22:
	s_and_not1_b32 vcc_lo, exec_lo, s12
	s_cbranch_vccnz .LBB51_24
; %bb.23:
	v_mul_u64_e32 v[10:11], s[8:9], v[10:11]
.LBB51_24:
	s_delay_alu instid0(VALU_DEP_1)
	v_mov_b64_e32 v[12:13], v[10:11]
.LBB51_25:
	v_dual_mov_b32 v1, 0 :: v_dual_bitop2_b32 v0, 3, v0 bitop3:0x40
	s_mov_b32 s10, exec_lo
	s_delay_alu instid0(VALU_DEP_1) | instskip(NEXT) | instid1(VALU_DEP_2)
	v_dual_mov_b32 v11, v1 :: v_dual_mov_b32 v10, v1
	v_cmpx_gt_i64_e64 s[4:5], v[0:1]
	s_cbranch_execz .LBB51_29
; %bb.26:
	s_xor_b32 s6, s7, s6
	s_delay_alu instid0(VALU_DEP_4)
	v_lshlrev_b64_e32 v[12:13], 3, v[12:13]
	s_and_b32 s6, s6, exec_lo
	s_cselect_b32 s7, 0, s3
	s_cselect_b32 s6, 1, s2
	s_xor_b32 s2, s12, s11
	v_mul_u64_e32 v[14:15], s[6:7], v[0:1]
	s_and_b32 s2, s2, exec_lo
	s_cselect_b32 s3, s9, 0
	s_cselect_b32 s2, s8, 1
	s_clause 0x1
	s_load_b64 s[8:9], s[0:1], 0x48
	s_load_b64 s[12:13], s[0:1], 0x38
	v_mul_u64_e32 v[10:11], s[2:3], v[0:1]
	v_lshlrev_b64_e32 v[8:9], 3, v[8:9]
	s_lshl_b64 s[2:3], s[2:3], 5
	s_lshl_b64 s[6:7], s[6:7], 5
	s_delay_alu instid0(VALU_DEP_1) | instskip(NEXT) | instid1(VALU_DEP_3)
	v_lshl_add_u64 v[14:15], v[14:15], 3, v[8:9]
	v_lshl_add_u64 v[10:11], v[10:11], 3, v[12:13]
	s_wait_kmcnt 0x0
	s_delay_alu instid0(VALU_DEP_1) | instskip(SKIP_2) | instid1(VALU_DEP_1)
	v_add_nc_u64_e32 v[12:13], s[8:9], v[10:11]
	v_mov_b32_e32 v10, 0
	s_mov_b32 s8, 0
	v_mov_b32_e32 v11, v10
	s_delay_alu instid0(VALU_DEP_3)
	v_add_nc_u64_e32 v[8:9], 4, v[12:13]
	v_add_nc_u64_e32 v[12:13], s[12:13], v[14:15]
	v_mov_b64_e32 v[14:15], v[0:1]
.LBB51_27:                              ; =>This Inner Loop Header: Depth=1
	global_load_b64 v[18:19], v[12:13], off
	global_load_b64 v[20:21], v[8:9], off offset:-4
	v_add_nc_u64_e32 v[14:15], 4, v[14:15]
	s_wait_xcnt 0x0
	v_add_nc_u64_e32 v[8:9], s[2:3], v[8:9]
	v_add_nc_u64_e32 v[12:13], s[6:7], v[12:13]
	s_delay_alu instid0(VALU_DEP_3) | instskip(SKIP_3) | instid1(VALU_DEP_1)
	v_cmp_le_i64_e32 vcc_lo, s[4:5], v[14:15]
	s_or_b32 s8, vcc_lo, s8
	s_wait_loadcnt 0x0
	v_pk_mul_f32 v[22:23], v[20:21], v[18:19] op_sel:[1,1] op_sel_hi:[1,0] neg_lo:[0,1]
	v_pk_fma_f32 v[18:19], v[18:19], v[20:21], v[22:23] op_sel_hi:[1,0,1]
	s_delay_alu instid0(VALU_DEP_1)
	v_pk_add_f32 v[10:11], v[10:11], v[18:19]
	s_and_not1_b32 exec_lo, exec_lo, s8
	s_cbranch_execnz .LBB51_27
; %bb.28:
	s_or_b32 exec_lo, exec_lo, s8
.LBB51_29:
	s_delay_alu instid0(SALU_CYCLE_1) | instskip(SKIP_3) | instid1(VALU_DEP_1)
	s_or_b32 exec_lo, exec_lo, s10
	s_load_b64 s[0:1], s[0:1], 0x60
	v_lshlrev_b32_e32 v1, 5, v16
	s_mov_b32 s2, exec_lo
	v_lshl_or_b32 v8, v0, 3, v1
	ds_store_b64 v8, v[10:11]
	s_wait_dscnt 0x0
	s_barrier_signal -1
	s_barrier_wait -1
	v_cmpx_gt_u32_e32 2, v0
	s_cbranch_execz .LBB51_31
; %bb.30:
	ds_load_2addr_b64 v[10:13], v8 offset1:2
	s_wait_dscnt 0x0
	v_pk_add_f32 v[10:11], v[12:13], v[10:11]
	ds_store_b64 v8, v[10:11]
.LBB51_31:
	s_or_b32 exec_lo, exec_lo, s2
	v_cmp_eq_u32_e32 vcc_lo, 0, v0
	s_wait_dscnt 0x0
	s_barrier_signal -1
	s_barrier_wait -1
	s_and_saveexec_b32 s2, vcc_lo
	s_cbranch_execz .LBB51_33
; %bb.32:
	ds_load_2addr_b64 v[10:13], v8 offset1:1
	s_wait_dscnt 0x0
	v_pk_add_f32 v[10:11], v[12:13], v[10:11]
	ds_store_b64 v8, v[10:11]
.LBB51_33:
	s_or_b32 exec_lo, exec_lo, s2
	s_wait_dscnt 0x0
	s_barrier_signal -1
	s_barrier_wait -1
	s_and_b32 exec_lo, exec_lo, vcc_lo
	s_cbranch_execz .LBB51_35
; %bb.34:
	s_wait_kmcnt 0x0
	v_lshl_add_u64 v[6:7], v[6:7], 3, s[0:1]
	ds_load_b64 v[0:1], v1
	v_mov_b32_e32 v10, v5
	global_load_b64 v[8:9], v[6:7], off
	s_wait_dscnt 0x0
	v_pk_mul_f32 v[12:13], v[0:1], v[2:3] op_sel:[1,1] op_sel_hi:[1,0] neg_lo:[0,1]
	s_delay_alu instid0(VALU_DEP_1) | instskip(SKIP_2) | instid1(VALU_DEP_1)
	v_pk_fma_f32 v[0:1], v[2:3], v[0:1], v[12:13] op_sel_hi:[1,0,1]
	s_wait_loadcnt 0x0
	v_pk_mul_f32 v[10:11], v[10:11], v[8:9] op_sel:[0,1] op_sel_hi:[0,0] neg_lo:[0,1]
	v_pk_fma_f32 v[4:5], v[8:9], v[4:5], v[10:11] op_sel_hi:[1,0,1]
	s_delay_alu instid0(VALU_DEP_1)
	v_pk_add_f32 v[0:1], v[0:1], v[4:5]
	global_store_b64 v[6:7], v[0:1], off
.LBB51_35:
	s_endpgm
	.section	.rodata,"a",@progbits
	.p2align	6, 0x0
	.amdhsa_kernel _ZN9rocsparseL16sddmm_ell_kernelILi512ELi4E21rocsparse_complex_numIfEllS2_S2_S2_EEv20rocsparse_operation_S3_16rocsparse_order_S4_T3_S5_S5_T2_NS_24const_host_device_scalarIT1_EEPKT4_lPKT5_lS9_PT6_PKS5_21rocsparse_index_base_b
		.amdhsa_group_segment_fixed_size 4096
		.amdhsa_private_segment_fixed_size 0
		.amdhsa_kernarg_size 120
		.amdhsa_user_sgpr_count 2
		.amdhsa_user_sgpr_dispatch_ptr 0
		.amdhsa_user_sgpr_queue_ptr 0
		.amdhsa_user_sgpr_kernarg_segment_ptr 1
		.amdhsa_user_sgpr_dispatch_id 0
		.amdhsa_user_sgpr_kernarg_preload_length 0
		.amdhsa_user_sgpr_kernarg_preload_offset 0
		.amdhsa_user_sgpr_private_segment_size 0
		.amdhsa_wavefront_size32 1
		.amdhsa_uses_dynamic_stack 0
		.amdhsa_enable_private_segment 0
		.amdhsa_system_sgpr_workgroup_id_x 1
		.amdhsa_system_sgpr_workgroup_id_y 0
		.amdhsa_system_sgpr_workgroup_id_z 0
		.amdhsa_system_sgpr_workgroup_info 0
		.amdhsa_system_vgpr_workitem_id 0
		.amdhsa_next_free_vgpr 24
		.amdhsa_next_free_sgpr 24
		.amdhsa_named_barrier_count 0
		.amdhsa_reserve_vcc 1
		.amdhsa_float_round_mode_32 0
		.amdhsa_float_round_mode_16_64 0
		.amdhsa_float_denorm_mode_32 3
		.amdhsa_float_denorm_mode_16_64 3
		.amdhsa_fp16_overflow 0
		.amdhsa_memory_ordered 1
		.amdhsa_forward_progress 1
		.amdhsa_inst_pref_size 15
		.amdhsa_round_robin_scheduling 0
		.amdhsa_exception_fp_ieee_invalid_op 0
		.amdhsa_exception_fp_denorm_src 0
		.amdhsa_exception_fp_ieee_div_zero 0
		.amdhsa_exception_fp_ieee_overflow 0
		.amdhsa_exception_fp_ieee_underflow 0
		.amdhsa_exception_fp_ieee_inexact 0
		.amdhsa_exception_int_div_zero 0
	.end_amdhsa_kernel
	.section	.text._ZN9rocsparseL16sddmm_ell_kernelILi512ELi4E21rocsparse_complex_numIfEllS2_S2_S2_EEv20rocsparse_operation_S3_16rocsparse_order_S4_T3_S5_S5_T2_NS_24const_host_device_scalarIT1_EEPKT4_lPKT5_lS9_PT6_PKS5_21rocsparse_index_base_b,"axG",@progbits,_ZN9rocsparseL16sddmm_ell_kernelILi512ELi4E21rocsparse_complex_numIfEllS2_S2_S2_EEv20rocsparse_operation_S3_16rocsparse_order_S4_T3_S5_S5_T2_NS_24const_host_device_scalarIT1_EEPKT4_lPKT5_lS9_PT6_PKS5_21rocsparse_index_base_b,comdat
.Lfunc_end51:
	.size	_ZN9rocsparseL16sddmm_ell_kernelILi512ELi4E21rocsparse_complex_numIfEllS2_S2_S2_EEv20rocsparse_operation_S3_16rocsparse_order_S4_T3_S5_S5_T2_NS_24const_host_device_scalarIT1_EEPKT4_lPKT5_lS9_PT6_PKS5_21rocsparse_index_base_b, .Lfunc_end51-_ZN9rocsparseL16sddmm_ell_kernelILi512ELi4E21rocsparse_complex_numIfEllS2_S2_S2_EEv20rocsparse_operation_S3_16rocsparse_order_S4_T3_S5_S5_T2_NS_24const_host_device_scalarIT1_EEPKT4_lPKT5_lS9_PT6_PKS5_21rocsparse_index_base_b
                                        ; -- End function
	.set _ZN9rocsparseL16sddmm_ell_kernelILi512ELi4E21rocsparse_complex_numIfEllS2_S2_S2_EEv20rocsparse_operation_S3_16rocsparse_order_S4_T3_S5_S5_T2_NS_24const_host_device_scalarIT1_EEPKT4_lPKT5_lS9_PT6_PKS5_21rocsparse_index_base_b.num_vgpr, 24
	.set _ZN9rocsparseL16sddmm_ell_kernelILi512ELi4E21rocsparse_complex_numIfEllS2_S2_S2_EEv20rocsparse_operation_S3_16rocsparse_order_S4_T3_S5_S5_T2_NS_24const_host_device_scalarIT1_EEPKT4_lPKT5_lS9_PT6_PKS5_21rocsparse_index_base_b.num_agpr, 0
	.set _ZN9rocsparseL16sddmm_ell_kernelILi512ELi4E21rocsparse_complex_numIfEllS2_S2_S2_EEv20rocsparse_operation_S3_16rocsparse_order_S4_T3_S5_S5_T2_NS_24const_host_device_scalarIT1_EEPKT4_lPKT5_lS9_PT6_PKS5_21rocsparse_index_base_b.numbered_sgpr, 24
	.set _ZN9rocsparseL16sddmm_ell_kernelILi512ELi4E21rocsparse_complex_numIfEllS2_S2_S2_EEv20rocsparse_operation_S3_16rocsparse_order_S4_T3_S5_S5_T2_NS_24const_host_device_scalarIT1_EEPKT4_lPKT5_lS9_PT6_PKS5_21rocsparse_index_base_b.num_named_barrier, 0
	.set _ZN9rocsparseL16sddmm_ell_kernelILi512ELi4E21rocsparse_complex_numIfEllS2_S2_S2_EEv20rocsparse_operation_S3_16rocsparse_order_S4_T3_S5_S5_T2_NS_24const_host_device_scalarIT1_EEPKT4_lPKT5_lS9_PT6_PKS5_21rocsparse_index_base_b.private_seg_size, 0
	.set _ZN9rocsparseL16sddmm_ell_kernelILi512ELi4E21rocsparse_complex_numIfEllS2_S2_S2_EEv20rocsparse_operation_S3_16rocsparse_order_S4_T3_S5_S5_T2_NS_24const_host_device_scalarIT1_EEPKT4_lPKT5_lS9_PT6_PKS5_21rocsparse_index_base_b.uses_vcc, 1
	.set _ZN9rocsparseL16sddmm_ell_kernelILi512ELi4E21rocsparse_complex_numIfEllS2_S2_S2_EEv20rocsparse_operation_S3_16rocsparse_order_S4_T3_S5_S5_T2_NS_24const_host_device_scalarIT1_EEPKT4_lPKT5_lS9_PT6_PKS5_21rocsparse_index_base_b.uses_flat_scratch, 0
	.set _ZN9rocsparseL16sddmm_ell_kernelILi512ELi4E21rocsparse_complex_numIfEllS2_S2_S2_EEv20rocsparse_operation_S3_16rocsparse_order_S4_T3_S5_S5_T2_NS_24const_host_device_scalarIT1_EEPKT4_lPKT5_lS9_PT6_PKS5_21rocsparse_index_base_b.has_dyn_sized_stack, 0
	.set _ZN9rocsparseL16sddmm_ell_kernelILi512ELi4E21rocsparse_complex_numIfEllS2_S2_S2_EEv20rocsparse_operation_S3_16rocsparse_order_S4_T3_S5_S5_T2_NS_24const_host_device_scalarIT1_EEPKT4_lPKT5_lS9_PT6_PKS5_21rocsparse_index_base_b.has_recursion, 0
	.set _ZN9rocsparseL16sddmm_ell_kernelILi512ELi4E21rocsparse_complex_numIfEllS2_S2_S2_EEv20rocsparse_operation_S3_16rocsparse_order_S4_T3_S5_S5_T2_NS_24const_host_device_scalarIT1_EEPKT4_lPKT5_lS9_PT6_PKS5_21rocsparse_index_base_b.has_indirect_call, 0
	.section	.AMDGPU.csdata,"",@progbits
; Kernel info:
; codeLenInByte = 1828
; TotalNumSgprs: 26
; NumVgprs: 24
; ScratchSize: 0
; MemoryBound: 0
; FloatMode: 240
; IeeeMode: 1
; LDSByteSize: 4096 bytes/workgroup (compile time only)
; SGPRBlocks: 0
; VGPRBlocks: 1
; NumSGPRsForWavesPerEU: 26
; NumVGPRsForWavesPerEU: 24
; NamedBarCnt: 0
; Occupancy: 16
; WaveLimiterHint : 0
; COMPUTE_PGM_RSRC2:SCRATCH_EN: 0
; COMPUTE_PGM_RSRC2:USER_SGPR: 2
; COMPUTE_PGM_RSRC2:TRAP_HANDLER: 0
; COMPUTE_PGM_RSRC2:TGID_X_EN: 1
; COMPUTE_PGM_RSRC2:TGID_Y_EN: 0
; COMPUTE_PGM_RSRC2:TGID_Z_EN: 0
; COMPUTE_PGM_RSRC2:TIDIG_COMP_CNT: 0
	.section	.text._ZN9rocsparseL16sddmm_ell_kernelILi512ELi2E21rocsparse_complex_numIfEllS2_S2_S2_EEv20rocsparse_operation_S3_16rocsparse_order_S4_T3_S5_S5_T2_NS_24const_host_device_scalarIT1_EEPKT4_lPKT5_lS9_PT6_PKS5_21rocsparse_index_base_b,"axG",@progbits,_ZN9rocsparseL16sddmm_ell_kernelILi512ELi2E21rocsparse_complex_numIfEllS2_S2_S2_EEv20rocsparse_operation_S3_16rocsparse_order_S4_T3_S5_S5_T2_NS_24const_host_device_scalarIT1_EEPKT4_lPKT5_lS9_PT6_PKS5_21rocsparse_index_base_b,comdat
	.globl	_ZN9rocsparseL16sddmm_ell_kernelILi512ELi2E21rocsparse_complex_numIfEllS2_S2_S2_EEv20rocsparse_operation_S3_16rocsparse_order_S4_T3_S5_S5_T2_NS_24const_host_device_scalarIT1_EEPKT4_lPKT5_lS9_PT6_PKS5_21rocsparse_index_base_b ; -- Begin function _ZN9rocsparseL16sddmm_ell_kernelILi512ELi2E21rocsparse_complex_numIfEllS2_S2_S2_EEv20rocsparse_operation_S3_16rocsparse_order_S4_T3_S5_S5_T2_NS_24const_host_device_scalarIT1_EEPKT4_lPKT5_lS9_PT6_PKS5_21rocsparse_index_base_b
	.p2align	8
	.type	_ZN9rocsparseL16sddmm_ell_kernelILi512ELi2E21rocsparse_complex_numIfEllS2_S2_S2_EEv20rocsparse_operation_S3_16rocsparse_order_S4_T3_S5_S5_T2_NS_24const_host_device_scalarIT1_EEPKT4_lPKT5_lS9_PT6_PKS5_21rocsparse_index_base_b,@function
_ZN9rocsparseL16sddmm_ell_kernelILi512ELi2E21rocsparse_complex_numIfEllS2_S2_S2_EEv20rocsparse_operation_S3_16rocsparse_order_S4_T3_S5_S5_T2_NS_24const_host_device_scalarIT1_EEPKT4_lPKT5_lS9_PT6_PKS5_21rocsparse_index_base_b: ; @_ZN9rocsparseL16sddmm_ell_kernelILi512ELi2E21rocsparse_complex_numIfEllS2_S2_S2_EEv20rocsparse_operation_S3_16rocsparse_order_S4_T3_S5_S5_T2_NS_24const_host_device_scalarIT1_EEPKT4_lPKT5_lS9_PT6_PKS5_21rocsparse_index_base_b
; %bb.0:
	s_clause 0x2
	s_load_b64 s[12:13], s[0:1], 0x70
	s_load_b64 s[2:3], s[0:1], 0x30
	s_load_b128 s[8:11], s[0:1], 0x50
	v_mov_b32_e32 v1, 0
	s_add_nc_u64 s[4:5], s[0:1], 48
	s_wait_kmcnt 0x0
	s_bitcmp1_b32 s13, 0
	s_cselect_b32 s3, s5, s3
	s_cselect_b32 s2, s4, s2
	flat_load_b64 v[2:3], v1, s[2:3]
	s_wait_xcnt 0x0
	s_add_nc_u64 s[2:3], s[0:1], 0x58
	s_delay_alu instid0(SALU_CYCLE_1)
	s_cselect_b32 s3, s3, s11
	s_cselect_b32 s2, s2, s10
	flat_load_b64 v[4:5], v1, s[2:3]
	s_wait_xcnt 0x0
	s_mov_b32 s2, -1
	s_mov_b32 s3, exec_lo
	s_wait_loadcnt_dscnt 0x101
	v_bitop3_b32 v1, v2, 0x7fffffff, v3 bitop3:0xc8
	s_delay_alu instid0(VALU_DEP_1)
	v_cmpx_eq_u32_e32 0, v1
	s_cbranch_execz .LBB52_2
; %bb.1:
	s_wait_loadcnt_dscnt 0x0
	v_cmp_neq_f32_e32 vcc_lo, 1.0, v4
	v_cmp_neq_f32_e64 s2, 0, v5
	s_or_b32 s2, vcc_lo, s2
	s_delay_alu instid0(SALU_CYCLE_1)
	s_or_not1_b32 s2, s2, exec_lo
.LBB52_2:
	s_or_b32 exec_lo, exec_lo, s3
	s_and_saveexec_b32 s3, s2
	s_cbranch_execz .LBB52_33
; %bb.3:
	s_load_b128 s[4:7], s[0:1], 0x20
	s_bfe_u32 s2, ttmp6, 0x4000c
	s_and_b32 s3, ttmp6, 15
	s_add_co_i32 s2, s2, 1
	s_getreg_b32 s10, hwreg(HW_REG_IB_STS2, 6, 4)
	s_mul_i32 s2, ttmp9, s2
	v_dual_mov_b32 v7, 0 :: v_dual_lshrrev_b32 v16, 1, v0
	s_add_co_i32 s3, s3, s2
	s_cmp_eq_u32 s10, 0
	s_cselect_b32 s2, ttmp9, s3
	s_delay_alu instid0(VALU_DEP_1) | instid1(SALU_CYCLE_1)
	v_lshl_or_b32 v6, s2, 8, v16
	s_wait_kmcnt 0x0
	s_delay_alu instid0(VALU_DEP_1)
	v_cmp_gt_i64_e32 vcc_lo, s[6:7], v[6:7]
	s_and_b32 exec_lo, exec_lo, vcc_lo
	s_cbranch_execz .LBB52_33
; %bb.4:
	s_load_b64 s[6:7], s[0:1], 0x10
                                        ; implicit-def: $vgpr12_vgpr13
	s_wait_kmcnt 0x0
	s_and_b64 s[2:3], s[6:7], 0xffffffff00000000
	s_delay_alu instid0(SALU_CYCLE_1) | instskip(SKIP_1) | instid1(SALU_CYCLE_1)
	s_cmp_lg_u64 s[2:3], 0
	s_cselect_b32 s2, -1, 0
	s_and_saveexec_b32 s3, s2
	s_delay_alu instid0(SALU_CYCLE_1)
	s_xor_b32 s3, exec_lo, s3
	s_cbranch_execz .LBB52_6
; %bb.5:
	s_ashr_i32 s10, s7, 31
	s_mov_b32 s21, 0
	s_mov_b32 s11, s10
	v_add_nc_u64_e32 v[8:9], 0, v[6:7]
	s_add_nc_u64 s[14:15], s[6:7], s[10:11]
	v_mov_b32_e32 v11, 0
	s_xor_b64 s[10:11], s[14:15], s[10:11]
	s_delay_alu instid0(SALU_CYCLE_1) | instskip(SKIP_3) | instid1(SALU_CYCLE_1)
	s_cvt_f32_u32 s2, s10
	s_cvt_f32_u32 s7, s11
	s_sub_nc_u64 s[16:17], 0, s[10:11]
	v_mov_b32_e32 v10, v8
	s_fmamk_f32 s2, s7, 0x4f800000, s2
	s_delay_alu instid0(SALU_CYCLE_3) | instskip(NEXT) | instid1(TRANS32_DEP_1)
	v_s_rcp_f32 s2, s2
	s_mul_f32 s2, s2, 0x5f7ffffc
	s_delay_alu instid0(SALU_CYCLE_3) | instskip(NEXT) | instid1(SALU_CYCLE_3)
	s_mul_f32 s7, s2, 0x2f800000
	s_trunc_f32 s7, s7
	s_delay_alu instid0(SALU_CYCLE_3) | instskip(SKIP_1) | instid1(SALU_CYCLE_2)
	s_fmamk_f32 s2, s7, 0xcf800000, s2
	s_cvt_u32_f32 s15, s7
	s_cvt_u32_f32 s14, s2
	s_delay_alu instid0(SALU_CYCLE_3) | instskip(NEXT) | instid1(SALU_CYCLE_1)
	s_mul_u64 s[18:19], s[16:17], s[14:15]
	s_mul_hi_u32 s23, s14, s19
	s_mul_i32 s22, s14, s19
	s_mul_hi_u32 s20, s14, s18
	s_mul_i32 s7, s15, s18
	s_add_nc_u64 s[22:23], s[20:21], s[22:23]
	s_mul_hi_u32 s2, s15, s18
	s_mul_hi_u32 s13, s15, s19
	s_add_co_u32 s7, s22, s7
	s_add_co_ci_u32 s20, s23, s2
	s_mul_i32 s18, s15, s19
	s_add_co_ci_u32 s19, s13, 0
	s_delay_alu instid0(SALU_CYCLE_1) | instskip(NEXT) | instid1(SALU_CYCLE_1)
	s_add_nc_u64 s[18:19], s[20:21], s[18:19]
	s_add_co_u32 s14, s14, s18
	s_cselect_b32 s2, -1, 0
	s_delay_alu instid0(SALU_CYCLE_1) | instskip(SKIP_1) | instid1(SALU_CYCLE_1)
	s_cmp_lg_u32 s2, 0
	s_add_co_ci_u32 s15, s15, s19
	s_mul_u64 s[16:17], s[16:17], s[14:15]
	s_delay_alu instid0(SALU_CYCLE_1)
	s_mul_hi_u32 s19, s14, s17
	s_mul_i32 s18, s14, s17
	s_mul_hi_u32 s20, s14, s16
	s_mul_i32 s7, s15, s16
	s_add_nc_u64 s[18:19], s[20:21], s[18:19]
	s_mul_hi_u32 s2, s15, s16
	s_mul_hi_u32 s13, s15, s17
	s_add_co_u32 s7, s18, s7
	s_add_co_ci_u32 s20, s19, s2
	s_mul_i32 s16, s15, s17
	s_add_co_ci_u32 s17, s13, 0
	s_delay_alu instid0(SALU_CYCLE_1) | instskip(NEXT) | instid1(SALU_CYCLE_1)
	s_add_nc_u64 s[16:17], s[20:21], s[16:17]
	s_add_co_u32 s2, s14, s16
	s_cselect_b32 s7, -1, 0
	s_delay_alu instid0(SALU_CYCLE_1)
	s_cmp_lg_u32 s7, 0
	s_add_co_ci_u32 s20, s15, s17
	s_mov_b64 s[14:15], 0xffffffff
	v_mul_u64_e32 v[12:13], s[20:21], v[10:11]
	v_mul_hi_u32 v10, v8, s2
	s_and_b64 s[14:15], s[2:3], s[14:15]
	s_delay_alu instid0(VALU_DEP_1) | instskip(SKIP_1) | instid1(VALU_DEP_1)
	v_add_nc_u64_e32 v[12:13], v[10:11], v[12:13]
	v_mov_b32_e32 v10, v9
	v_mul_u64_e32 v[14:15], s[14:15], v[10:11]
	v_mul_u64_e32 v[18:19], s[20:21], v[10:11]
	s_delay_alu instid0(VALU_DEP_2) | instskip(NEXT) | instid1(VALU_DEP_3)
	v_add_co_u32 v1, vcc_lo, v12, v14
	v_add_co_ci_u32_e32 v10, vcc_lo, v13, v15, vcc_lo
	s_delay_alu instid0(VALU_DEP_3) | instskip(NEXT) | instid1(VALU_DEP_1)
	v_add_co_ci_u32_e32 v19, vcc_lo, 0, v19, vcc_lo
	v_add_nc_u64_e32 v[10:11], v[10:11], v[18:19]
	s_delay_alu instid0(VALU_DEP_1) | instskip(NEXT) | instid1(VALU_DEP_1)
	v_mul_u64_e32 v[10:11], s[10:11], v[10:11]
	v_sub_nc_u32_e32 v1, v9, v11
	s_delay_alu instid0(VALU_DEP_2) | instskip(NEXT) | instid1(VALU_DEP_1)
	v_sub_co_u32 v8, vcc_lo, v8, v10
	v_sub_co_ci_u32_e64 v9, null, v9, v11, vcc_lo
	s_delay_alu instid0(VALU_DEP_3) | instskip(NEXT) | instid1(VALU_DEP_3)
	v_subrev_co_ci_u32_e64 v1, null, s11, v1, vcc_lo
	v_sub_co_u32 v10, vcc_lo, v8, s10
	v_cmp_le_u32_e64 s2, s10, v8
	s_delay_alu instid0(VALU_DEP_3) | instskip(SKIP_1) | instid1(VALU_DEP_3)
	v_subrev_co_ci_u32_e64 v11, null, 0, v1, vcc_lo
	v_subrev_co_ci_u32_e64 v1, null, s11, v1, vcc_lo
	v_cndmask_b32_e64 v12, 0, -1, s2
	v_cmp_le_u32_e64 s2, s10, v10
	v_cmp_le_u32_e32 vcc_lo, s11, v9
	s_delay_alu instid0(VALU_DEP_2) | instskip(SKIP_3) | instid1(VALU_DEP_3)
	v_cndmask_b32_e64 v13, 0, -1, s2
	v_cmp_le_u32_e64 s2, s11, v11
	v_cndmask_b32_e64 v15, 0, -1, vcc_lo
	v_cmp_eq_u32_e32 vcc_lo, s11, v11
	v_cndmask_b32_e64 v14, 0, -1, s2
	v_cmp_eq_u32_e64 s2, s11, v9
	s_delay_alu instid0(VALU_DEP_1) | instskip(SKIP_1) | instid1(VALU_DEP_1)
	v_dual_cndmask_b32 v13, v14, v13, vcc_lo :: v_dual_cndmask_b32 v12, v15, v12, s2
	v_sub_co_u32 v14, vcc_lo, v10, s10
	v_subrev_co_ci_u32_e64 v1, null, 0, v1, vcc_lo
	s_delay_alu instid0(VALU_DEP_3) | instskip(NEXT) | instid1(VALU_DEP_2)
	v_cmp_ne_u32_e32 vcc_lo, 0, v13
	v_dual_cndmask_b32 v1, v11, v1 :: v_dual_cndmask_b32 v10, v10, v14
	v_cmp_ne_u32_e32 vcc_lo, 0, v12
	s_delay_alu instid0(VALU_DEP_2) | instskip(NEXT) | instid1(VALU_DEP_1)
	v_dual_cndmask_b32 v9, v9, v1 :: v_dual_cndmask_b32 v8, v8, v10
	v_sub_nc_u64_e64 v[12:13], v[8:9], 0
.LBB52_6:
	s_or_saveexec_b32 s7, s3
	s_load_b64 s[2:3], s[0:1], 0x68
	s_xor_b32 exec_lo, exec_lo, s7
	s_cbranch_execz .LBB52_8
; %bb.7:
	v_cvt_f32_u32_e32 v1, s6
	s_sub_co_i32 s10, 0, s6
	v_mov_b32_e32 v13, 0
	s_delay_alu instid0(VALU_DEP_2) | instskip(SKIP_1) | instid1(TRANS32_DEP_1)
	v_rcp_iflag_f32_e32 v1, v1
	v_nop
	v_mul_f32_e32 v1, 0x4f7ffffe, v1
	s_delay_alu instid0(VALU_DEP_1) | instskip(NEXT) | instid1(VALU_DEP_1)
	v_cvt_u32_f32_e32 v1, v1
	v_mul_lo_u32 v8, s10, v1
	s_delay_alu instid0(VALU_DEP_1) | instskip(NEXT) | instid1(VALU_DEP_1)
	v_mul_hi_u32 v8, v1, v8
	v_add_nc_u32_e32 v1, v1, v8
	s_delay_alu instid0(VALU_DEP_1) | instskip(NEXT) | instid1(VALU_DEP_1)
	v_mul_hi_u32 v1, v6, v1
	v_mul_lo_u32 v1, v1, s6
	s_delay_alu instid0(VALU_DEP_1) | instskip(NEXT) | instid1(VALU_DEP_1)
	v_sub_nc_u32_e32 v1, v6, v1
	v_subrev_nc_u32_e32 v8, s6, v1
	v_cmp_le_u32_e32 vcc_lo, s6, v1
	s_delay_alu instid0(VALU_DEP_2) | instskip(NEXT) | instid1(VALU_DEP_1)
	v_cndmask_b32_e32 v1, v1, v8, vcc_lo
	v_subrev_nc_u32_e32 v8, s6, v1
	v_cmp_le_u32_e32 vcc_lo, s6, v1
	s_delay_alu instid0(VALU_DEP_2)
	v_cndmask_b32_e32 v12, v1, v8, vcc_lo
.LBB52_8:
	s_or_b32 exec_lo, exec_lo, s7
	s_wait_kmcnt 0x0
	v_lshl_add_u64 v[8:9], v[6:7], 3, s[2:3]
	s_mov_b32 s13, 0
	global_load_b64 v[8:9], v[8:9], off
	s_wait_loadcnt 0x0
	v_sub_nc_u64_e64 v[10:11], v[8:9], s[12:13]
	s_delay_alu instid0(VALU_DEP_1)
	v_cmp_lt_i64_e32 vcc_lo, -1, v[10:11]
	s_and_b32 exec_lo, exec_lo, vcc_lo
	s_cbranch_execz .LBB52_33
; %bb.9:
	s_clause 0x1
	s_load_b128 s[12:15], s[0:1], 0x0
	s_load_b64 s[2:3], s[0:1], 0x40
	s_wait_kmcnt 0x0
	s_cmp_eq_u32 s14, 1
	s_cselect_b32 s6, -1, 0
	s_cmp_eq_u32 s12, 0x6f
	s_cselect_b32 s7, -1, 0
	s_cmp_lg_u32 s12, 0x6f
	s_cselect_b32 s10, -1, 0
	s_cmp_lg_u32 s14, 1
	s_cbranch_scc0 .LBB52_13
; %bb.10:
	v_mov_b64_e32 v[8:9], v[12:13]
	s_and_not1_b32 vcc_lo, exec_lo, s7
	s_cbranch_vccnz .LBB52_12
; %bb.11:
	v_mul_u64_e32 v[8:9], s[2:3], v[12:13]
.LBB52_12:
	s_cbranch_execz .LBB52_14
	s_branch .LBB52_17
.LBB52_13:
                                        ; implicit-def: $vgpr8_vgpr9
.LBB52_14:
	s_and_not1_b32 vcc_lo, exec_lo, s10
	s_cbranch_vccnz .LBB52_16
; %bb.15:
	v_mul_u64_e32 v[12:13], s[2:3], v[12:13]
.LBB52_16:
	s_delay_alu instid0(VALU_DEP_1)
	v_mov_b64_e32 v[8:9], v[12:13]
.LBB52_17:
	s_cmp_eq_u32 s15, 1
	s_cselect_b32 s11, -1, 0
	s_cmp_eq_u32 s13, 0x6f
	s_cselect_b32 s12, -1, 0
	s_cmp_lg_u32 s13, 0x6f
	s_cselect_b32 s10, -1, 0
	s_cmp_lg_u32 s15, 1
	s_cbranch_scc0 .LBB52_21
; %bb.18:
	v_mov_b64_e32 v[12:13], v[10:11]
	s_and_not1_b32 vcc_lo, exec_lo, s10
	s_cbranch_vccnz .LBB52_20
; %bb.19:
	v_mul_u64_e32 v[12:13], s[8:9], v[10:11]
.LBB52_20:
	s_cbranch_execz .LBB52_22
	s_branch .LBB52_25
.LBB52_21:
                                        ; implicit-def: $vgpr12_vgpr13
.LBB52_22:
	s_and_not1_b32 vcc_lo, exec_lo, s12
	s_cbranch_vccnz .LBB52_24
; %bb.23:
	v_mul_u64_e32 v[10:11], s[8:9], v[10:11]
.LBB52_24:
	s_delay_alu instid0(VALU_DEP_1)
	v_mov_b64_e32 v[12:13], v[10:11]
.LBB52_25:
	v_dual_mov_b32 v1, 0 :: v_dual_bitop2_b32 v0, 1, v0 bitop3:0x40
	s_mov_b32 s10, exec_lo
	s_delay_alu instid0(VALU_DEP_1) | instskip(NEXT) | instid1(VALU_DEP_2)
	v_dual_mov_b32 v11, v1 :: v_dual_mov_b32 v10, v1
	v_cmpx_gt_i64_e64 s[4:5], v[0:1]
	s_cbranch_execz .LBB52_29
; %bb.26:
	s_xor_b32 s6, s7, s6
	s_delay_alu instid0(VALU_DEP_4)
	v_lshlrev_b64_e32 v[12:13], 3, v[12:13]
	s_and_b32 s6, s6, exec_lo
	s_cselect_b32 s7, 0, s3
	s_cselect_b32 s6, 1, s2
	s_xor_b32 s2, s12, s11
	v_mul_u64_e32 v[14:15], s[6:7], v[0:1]
	s_and_b32 s2, s2, exec_lo
	s_cselect_b32 s3, s9, 0
	s_cselect_b32 s2, s8, 1
	s_clause 0x1
	s_load_b64 s[8:9], s[0:1], 0x48
	s_load_b64 s[12:13], s[0:1], 0x38
	v_mul_u64_e32 v[10:11], s[2:3], v[0:1]
	v_lshlrev_b64_e32 v[8:9], 3, v[8:9]
	s_lshl_b64 s[2:3], s[2:3], 4
	s_lshl_b64 s[6:7], s[6:7], 4
	s_delay_alu instid0(VALU_DEP_1) | instskip(NEXT) | instid1(VALU_DEP_3)
	v_lshl_add_u64 v[14:15], v[14:15], 3, v[8:9]
	v_lshl_add_u64 v[10:11], v[10:11], 3, v[12:13]
	s_wait_kmcnt 0x0
	s_delay_alu instid0(VALU_DEP_1) | instskip(SKIP_2) | instid1(VALU_DEP_1)
	v_add_nc_u64_e32 v[12:13], s[8:9], v[10:11]
	v_mov_b32_e32 v10, 0
	s_mov_b32 s8, 0
	v_mov_b32_e32 v11, v10
	s_delay_alu instid0(VALU_DEP_3)
	v_add_nc_u64_e32 v[8:9], 4, v[12:13]
	v_add_nc_u64_e32 v[12:13], s[12:13], v[14:15]
	v_mov_b64_e32 v[14:15], v[0:1]
.LBB52_27:                              ; =>This Inner Loop Header: Depth=1
	global_load_b64 v[18:19], v[12:13], off
	global_load_b64 v[20:21], v[8:9], off offset:-4
	v_add_nc_u64_e32 v[14:15], 2, v[14:15]
	s_wait_xcnt 0x0
	v_add_nc_u64_e32 v[8:9], s[2:3], v[8:9]
	v_add_nc_u64_e32 v[12:13], s[6:7], v[12:13]
	s_delay_alu instid0(VALU_DEP_3) | instskip(SKIP_3) | instid1(VALU_DEP_1)
	v_cmp_le_i64_e32 vcc_lo, s[4:5], v[14:15]
	s_or_b32 s8, vcc_lo, s8
	s_wait_loadcnt 0x0
	v_pk_mul_f32 v[22:23], v[20:21], v[18:19] op_sel:[1,1] op_sel_hi:[1,0] neg_lo:[0,1]
	v_pk_fma_f32 v[18:19], v[18:19], v[20:21], v[22:23] op_sel_hi:[1,0,1]
	s_delay_alu instid0(VALU_DEP_1)
	v_pk_add_f32 v[10:11], v[10:11], v[18:19]
	s_and_not1_b32 exec_lo, exec_lo, s8
	s_cbranch_execnz .LBB52_27
; %bb.28:
	s_or_b32 exec_lo, exec_lo, s8
.LBB52_29:
	s_delay_alu instid0(SALU_CYCLE_1) | instskip(SKIP_3) | instid1(VALU_DEP_2)
	s_or_b32 exec_lo, exec_lo, s10
	s_load_b64 s[0:1], s[0:1], 0x60
	v_lshlrev_b32_e32 v1, 4, v16
	v_cmp_eq_u32_e32 vcc_lo, 0, v0
	v_lshl_or_b32 v8, v0, 3, v1
	ds_store_b64 v8, v[10:11]
	s_wait_dscnt 0x0
	s_barrier_signal -1
	s_barrier_wait -1
	s_and_saveexec_b32 s2, vcc_lo
	s_cbranch_execz .LBB52_31
; %bb.30:
	ds_load_b64 v[10:11], v1 offset:8
	ds_load_b64 v[12:13], v8
	s_wait_dscnt 0x0
	v_pk_add_f32 v[10:11], v[10:11], v[12:13]
	ds_store_b64 v8, v[10:11]
.LBB52_31:
	s_or_b32 exec_lo, exec_lo, s2
	s_wait_dscnt 0x0
	s_barrier_signal -1
	s_barrier_wait -1
	s_and_b32 exec_lo, exec_lo, vcc_lo
	s_cbranch_execz .LBB52_33
; %bb.32:
	s_wait_kmcnt 0x0
	v_lshl_add_u64 v[6:7], v[6:7], 3, s[0:1]
	ds_load_b64 v[0:1], v1
	v_mov_b32_e32 v10, v5
	global_load_b64 v[8:9], v[6:7], off
	s_wait_dscnt 0x0
	v_pk_mul_f32 v[12:13], v[0:1], v[2:3] op_sel:[1,1] op_sel_hi:[1,0] neg_lo:[0,1]
	s_delay_alu instid0(VALU_DEP_1) | instskip(SKIP_2) | instid1(VALU_DEP_1)
	v_pk_fma_f32 v[0:1], v[2:3], v[0:1], v[12:13] op_sel_hi:[1,0,1]
	s_wait_loadcnt 0x0
	v_pk_mul_f32 v[10:11], v[10:11], v[8:9] op_sel:[0,1] op_sel_hi:[0,0] neg_lo:[0,1]
	v_pk_fma_f32 v[4:5], v[8:9], v[4:5], v[10:11] op_sel_hi:[1,0,1]
	s_delay_alu instid0(VALU_DEP_1)
	v_pk_add_f32 v[0:1], v[0:1], v[4:5]
	global_store_b64 v[6:7], v[0:1], off
.LBB52_33:
	s_endpgm
	.section	.rodata,"a",@progbits
	.p2align	6, 0x0
	.amdhsa_kernel _ZN9rocsparseL16sddmm_ell_kernelILi512ELi2E21rocsparse_complex_numIfEllS2_S2_S2_EEv20rocsparse_operation_S3_16rocsparse_order_S4_T3_S5_S5_T2_NS_24const_host_device_scalarIT1_EEPKT4_lPKT5_lS9_PT6_PKS5_21rocsparse_index_base_b
		.amdhsa_group_segment_fixed_size 4096
		.amdhsa_private_segment_fixed_size 0
		.amdhsa_kernarg_size 120
		.amdhsa_user_sgpr_count 2
		.amdhsa_user_sgpr_dispatch_ptr 0
		.amdhsa_user_sgpr_queue_ptr 0
		.amdhsa_user_sgpr_kernarg_segment_ptr 1
		.amdhsa_user_sgpr_dispatch_id 0
		.amdhsa_user_sgpr_kernarg_preload_length 0
		.amdhsa_user_sgpr_kernarg_preload_offset 0
		.amdhsa_user_sgpr_private_segment_size 0
		.amdhsa_wavefront_size32 1
		.amdhsa_uses_dynamic_stack 0
		.amdhsa_enable_private_segment 0
		.amdhsa_system_sgpr_workgroup_id_x 1
		.amdhsa_system_sgpr_workgroup_id_y 0
		.amdhsa_system_sgpr_workgroup_id_z 0
		.amdhsa_system_sgpr_workgroup_info 0
		.amdhsa_system_vgpr_workitem_id 0
		.amdhsa_next_free_vgpr 24
		.amdhsa_next_free_sgpr 24
		.amdhsa_named_barrier_count 0
		.amdhsa_reserve_vcc 1
		.amdhsa_float_round_mode_32 0
		.amdhsa_float_round_mode_16_64 0
		.amdhsa_float_denorm_mode_32 3
		.amdhsa_float_denorm_mode_16_64 3
		.amdhsa_fp16_overflow 0
		.amdhsa_memory_ordered 1
		.amdhsa_forward_progress 1
		.amdhsa_inst_pref_size 14
		.amdhsa_round_robin_scheduling 0
		.amdhsa_exception_fp_ieee_invalid_op 0
		.amdhsa_exception_fp_denorm_src 0
		.amdhsa_exception_fp_ieee_div_zero 0
		.amdhsa_exception_fp_ieee_overflow 0
		.amdhsa_exception_fp_ieee_underflow 0
		.amdhsa_exception_fp_ieee_inexact 0
		.amdhsa_exception_int_div_zero 0
	.end_amdhsa_kernel
	.section	.text._ZN9rocsparseL16sddmm_ell_kernelILi512ELi2E21rocsparse_complex_numIfEllS2_S2_S2_EEv20rocsparse_operation_S3_16rocsparse_order_S4_T3_S5_S5_T2_NS_24const_host_device_scalarIT1_EEPKT4_lPKT5_lS9_PT6_PKS5_21rocsparse_index_base_b,"axG",@progbits,_ZN9rocsparseL16sddmm_ell_kernelILi512ELi2E21rocsparse_complex_numIfEllS2_S2_S2_EEv20rocsparse_operation_S3_16rocsparse_order_S4_T3_S5_S5_T2_NS_24const_host_device_scalarIT1_EEPKT4_lPKT5_lS9_PT6_PKS5_21rocsparse_index_base_b,comdat
.Lfunc_end52:
	.size	_ZN9rocsparseL16sddmm_ell_kernelILi512ELi2E21rocsparse_complex_numIfEllS2_S2_S2_EEv20rocsparse_operation_S3_16rocsparse_order_S4_T3_S5_S5_T2_NS_24const_host_device_scalarIT1_EEPKT4_lPKT5_lS9_PT6_PKS5_21rocsparse_index_base_b, .Lfunc_end52-_ZN9rocsparseL16sddmm_ell_kernelILi512ELi2E21rocsparse_complex_numIfEllS2_S2_S2_EEv20rocsparse_operation_S3_16rocsparse_order_S4_T3_S5_S5_T2_NS_24const_host_device_scalarIT1_EEPKT4_lPKT5_lS9_PT6_PKS5_21rocsparse_index_base_b
                                        ; -- End function
	.set _ZN9rocsparseL16sddmm_ell_kernelILi512ELi2E21rocsparse_complex_numIfEllS2_S2_S2_EEv20rocsparse_operation_S3_16rocsparse_order_S4_T3_S5_S5_T2_NS_24const_host_device_scalarIT1_EEPKT4_lPKT5_lS9_PT6_PKS5_21rocsparse_index_base_b.num_vgpr, 24
	.set _ZN9rocsparseL16sddmm_ell_kernelILi512ELi2E21rocsparse_complex_numIfEllS2_S2_S2_EEv20rocsparse_operation_S3_16rocsparse_order_S4_T3_S5_S5_T2_NS_24const_host_device_scalarIT1_EEPKT4_lPKT5_lS9_PT6_PKS5_21rocsparse_index_base_b.num_agpr, 0
	.set _ZN9rocsparseL16sddmm_ell_kernelILi512ELi2E21rocsparse_complex_numIfEllS2_S2_S2_EEv20rocsparse_operation_S3_16rocsparse_order_S4_T3_S5_S5_T2_NS_24const_host_device_scalarIT1_EEPKT4_lPKT5_lS9_PT6_PKS5_21rocsparse_index_base_b.numbered_sgpr, 24
	.set _ZN9rocsparseL16sddmm_ell_kernelILi512ELi2E21rocsparse_complex_numIfEllS2_S2_S2_EEv20rocsparse_operation_S3_16rocsparse_order_S4_T3_S5_S5_T2_NS_24const_host_device_scalarIT1_EEPKT4_lPKT5_lS9_PT6_PKS5_21rocsparse_index_base_b.num_named_barrier, 0
	.set _ZN9rocsparseL16sddmm_ell_kernelILi512ELi2E21rocsparse_complex_numIfEllS2_S2_S2_EEv20rocsparse_operation_S3_16rocsparse_order_S4_T3_S5_S5_T2_NS_24const_host_device_scalarIT1_EEPKT4_lPKT5_lS9_PT6_PKS5_21rocsparse_index_base_b.private_seg_size, 0
	.set _ZN9rocsparseL16sddmm_ell_kernelILi512ELi2E21rocsparse_complex_numIfEllS2_S2_S2_EEv20rocsparse_operation_S3_16rocsparse_order_S4_T3_S5_S5_T2_NS_24const_host_device_scalarIT1_EEPKT4_lPKT5_lS9_PT6_PKS5_21rocsparse_index_base_b.uses_vcc, 1
	.set _ZN9rocsparseL16sddmm_ell_kernelILi512ELi2E21rocsparse_complex_numIfEllS2_S2_S2_EEv20rocsparse_operation_S3_16rocsparse_order_S4_T3_S5_S5_T2_NS_24const_host_device_scalarIT1_EEPKT4_lPKT5_lS9_PT6_PKS5_21rocsparse_index_base_b.uses_flat_scratch, 0
	.set _ZN9rocsparseL16sddmm_ell_kernelILi512ELi2E21rocsparse_complex_numIfEllS2_S2_S2_EEv20rocsparse_operation_S3_16rocsparse_order_S4_T3_S5_S5_T2_NS_24const_host_device_scalarIT1_EEPKT4_lPKT5_lS9_PT6_PKS5_21rocsparse_index_base_b.has_dyn_sized_stack, 0
	.set _ZN9rocsparseL16sddmm_ell_kernelILi512ELi2E21rocsparse_complex_numIfEllS2_S2_S2_EEv20rocsparse_operation_S3_16rocsparse_order_S4_T3_S5_S5_T2_NS_24const_host_device_scalarIT1_EEPKT4_lPKT5_lS9_PT6_PKS5_21rocsparse_index_base_b.has_recursion, 0
	.set _ZN9rocsparseL16sddmm_ell_kernelILi512ELi2E21rocsparse_complex_numIfEllS2_S2_S2_EEv20rocsparse_operation_S3_16rocsparse_order_S4_T3_S5_S5_T2_NS_24const_host_device_scalarIT1_EEPKT4_lPKT5_lS9_PT6_PKS5_21rocsparse_index_base_b.has_indirect_call, 0
	.section	.AMDGPU.csdata,"",@progbits
; Kernel info:
; codeLenInByte = 1780
; TotalNumSgprs: 26
; NumVgprs: 24
; ScratchSize: 0
; MemoryBound: 0
; FloatMode: 240
; IeeeMode: 1
; LDSByteSize: 4096 bytes/workgroup (compile time only)
; SGPRBlocks: 0
; VGPRBlocks: 1
; NumSGPRsForWavesPerEU: 26
; NumVGPRsForWavesPerEU: 24
; NamedBarCnt: 0
; Occupancy: 16
; WaveLimiterHint : 0
; COMPUTE_PGM_RSRC2:SCRATCH_EN: 0
; COMPUTE_PGM_RSRC2:USER_SGPR: 2
; COMPUTE_PGM_RSRC2:TRAP_HANDLER: 0
; COMPUTE_PGM_RSRC2:TGID_X_EN: 1
; COMPUTE_PGM_RSRC2:TGID_Y_EN: 0
; COMPUTE_PGM_RSRC2:TGID_Z_EN: 0
; COMPUTE_PGM_RSRC2:TIDIG_COMP_CNT: 0
	.section	.text._ZN9rocsparseL16sddmm_ell_kernelILi512ELi1E21rocsparse_complex_numIfEllS2_S2_S2_EEv20rocsparse_operation_S3_16rocsparse_order_S4_T3_S5_S5_T2_NS_24const_host_device_scalarIT1_EEPKT4_lPKT5_lS9_PT6_PKS5_21rocsparse_index_base_b,"axG",@progbits,_ZN9rocsparseL16sddmm_ell_kernelILi512ELi1E21rocsparse_complex_numIfEllS2_S2_S2_EEv20rocsparse_operation_S3_16rocsparse_order_S4_T3_S5_S5_T2_NS_24const_host_device_scalarIT1_EEPKT4_lPKT5_lS9_PT6_PKS5_21rocsparse_index_base_b,comdat
	.globl	_ZN9rocsparseL16sddmm_ell_kernelILi512ELi1E21rocsparse_complex_numIfEllS2_S2_S2_EEv20rocsparse_operation_S3_16rocsparse_order_S4_T3_S5_S5_T2_NS_24const_host_device_scalarIT1_EEPKT4_lPKT5_lS9_PT6_PKS5_21rocsparse_index_base_b ; -- Begin function _ZN9rocsparseL16sddmm_ell_kernelILi512ELi1E21rocsparse_complex_numIfEllS2_S2_S2_EEv20rocsparse_operation_S3_16rocsparse_order_S4_T3_S5_S5_T2_NS_24const_host_device_scalarIT1_EEPKT4_lPKT5_lS9_PT6_PKS5_21rocsparse_index_base_b
	.p2align	8
	.type	_ZN9rocsparseL16sddmm_ell_kernelILi512ELi1E21rocsparse_complex_numIfEllS2_S2_S2_EEv20rocsparse_operation_S3_16rocsparse_order_S4_T3_S5_S5_T2_NS_24const_host_device_scalarIT1_EEPKT4_lPKT5_lS9_PT6_PKS5_21rocsparse_index_base_b,@function
_ZN9rocsparseL16sddmm_ell_kernelILi512ELi1E21rocsparse_complex_numIfEllS2_S2_S2_EEv20rocsparse_operation_S3_16rocsparse_order_S4_T3_S5_S5_T2_NS_24const_host_device_scalarIT1_EEPKT4_lPKT5_lS9_PT6_PKS5_21rocsparse_index_base_b: ; @_ZN9rocsparseL16sddmm_ell_kernelILi512ELi1E21rocsparse_complex_numIfEllS2_S2_S2_EEv20rocsparse_operation_S3_16rocsparse_order_S4_T3_S5_S5_T2_NS_24const_host_device_scalarIT1_EEPKT4_lPKT5_lS9_PT6_PKS5_21rocsparse_index_base_b
; %bb.0:
	s_clause 0x2
	s_load_b64 s[12:13], s[0:1], 0x70
	s_load_b64 s[2:3], s[0:1], 0x30
	s_load_b128 s[4:7], s[0:1], 0x50
	v_mov_b32_e32 v1, 0
	s_add_nc_u64 s[8:9], s[0:1], 48
	s_wait_kmcnt 0x0
	s_bitcmp1_b32 s13, 0
	s_cselect_b32 s3, s9, s3
	s_cselect_b32 s2, s8, s2
	flat_load_b64 v[2:3], v1, s[2:3]
	s_wait_xcnt 0x0
	s_add_nc_u64 s[2:3], s[0:1], 0x58
	s_delay_alu instid0(SALU_CYCLE_1)
	s_cselect_b32 s3, s3, s7
	s_cselect_b32 s2, s2, s6
	flat_load_b64 v[4:5], v1, s[2:3]
	s_wait_xcnt 0x0
	s_mov_b32 s2, -1
	s_mov_b32 s3, exec_lo
	s_wait_loadcnt_dscnt 0x101
	v_bitop3_b32 v1, v2, 0x7fffffff, v3 bitop3:0xc8
	s_delay_alu instid0(VALU_DEP_1)
	v_cmpx_eq_u32_e32 0, v1
	s_cbranch_execz .LBB53_2
; %bb.1:
	s_wait_loadcnt_dscnt 0x0
	v_cmp_neq_f32_e32 vcc_lo, 1.0, v4
	v_cmp_neq_f32_e64 s2, 0, v5
	s_or_b32 s2, vcc_lo, s2
	s_delay_alu instid0(SALU_CYCLE_1)
	s_or_not1_b32 s2, s2, exec_lo
.LBB53_2:
	s_or_b32 exec_lo, exec_lo, s3
	s_and_saveexec_b32 s3, s2
	s_cbranch_execz .LBB53_30
; %bb.3:
	s_load_b128 s[8:11], s[0:1], 0x20
	s_bfe_u32 s2, ttmp6, 0x4000c
	s_and_b32 s3, ttmp6, 15
	s_add_co_i32 s2, s2, 1
	s_getreg_b32 s6, hwreg(HW_REG_IB_STS2, 6, 4)
	s_mul_i32 s2, ttmp9, s2
	v_mov_b32_e32 v7, 0
	s_add_co_i32 s3, s3, s2
	s_cmp_eq_u32 s6, 0
	s_cselect_b32 s2, ttmp9, s3
	s_delay_alu instid0(SALU_CYCLE_1) | instskip(SKIP_1) | instid1(VALU_DEP_1)
	v_lshl_or_b32 v6, s2, 9, v0
	s_wait_kmcnt 0x0
	v_cmp_gt_i64_e32 vcc_lo, s[10:11], v[6:7]
	s_and_b32 exec_lo, exec_lo, vcc_lo
	s_cbranch_execz .LBB53_30
; %bb.4:
	s_load_b64 s[6:7], s[0:1], 0x10
                                        ; implicit-def: $vgpr12_vgpr13
	s_wait_kmcnt 0x0
	s_and_b64 s[2:3], s[6:7], 0xffffffff00000000
	s_delay_alu instid0(SALU_CYCLE_1) | instskip(SKIP_1) | instid1(SALU_CYCLE_1)
	s_cmp_lg_u64 s[2:3], 0
	s_cselect_b32 s2, -1, 0
	s_and_saveexec_b32 s3, s2
	s_delay_alu instid0(SALU_CYCLE_1)
	s_xor_b32 s3, exec_lo, s3
	s_cbranch_execz .LBB53_6
; %bb.5:
	s_ashr_i32 s10, s7, 31
	s_mov_b32 s21, 0
	s_mov_b32 s11, s10
	v_add_nc_u64_e32 v[8:9], 0, v[6:7]
	s_add_nc_u64 s[14:15], s[6:7], s[10:11]
	v_mov_b32_e32 v11, 0
	s_xor_b64 s[10:11], s[14:15], s[10:11]
	s_delay_alu instid0(SALU_CYCLE_1) | instskip(SKIP_3) | instid1(SALU_CYCLE_1)
	s_cvt_f32_u32 s2, s10
	s_cvt_f32_u32 s7, s11
	s_sub_nc_u64 s[16:17], 0, s[10:11]
	v_mov_b32_e32 v10, v8
	s_fmamk_f32 s2, s7, 0x4f800000, s2
	s_delay_alu instid0(SALU_CYCLE_3) | instskip(NEXT) | instid1(TRANS32_DEP_1)
	v_s_rcp_f32 s2, s2
	s_mul_f32 s2, s2, 0x5f7ffffc
	s_delay_alu instid0(SALU_CYCLE_3) | instskip(NEXT) | instid1(SALU_CYCLE_3)
	s_mul_f32 s7, s2, 0x2f800000
	s_trunc_f32 s7, s7
	s_delay_alu instid0(SALU_CYCLE_3) | instskip(SKIP_1) | instid1(SALU_CYCLE_2)
	s_fmamk_f32 s2, s7, 0xcf800000, s2
	s_cvt_u32_f32 s15, s7
	s_cvt_u32_f32 s14, s2
	s_delay_alu instid0(SALU_CYCLE_3) | instskip(NEXT) | instid1(SALU_CYCLE_1)
	s_mul_u64 s[18:19], s[16:17], s[14:15]
	s_mul_hi_u32 s23, s14, s19
	s_mul_i32 s22, s14, s19
	s_mul_hi_u32 s20, s14, s18
	s_mul_i32 s7, s15, s18
	s_add_nc_u64 s[22:23], s[20:21], s[22:23]
	s_mul_hi_u32 s2, s15, s18
	s_mul_hi_u32 s13, s15, s19
	s_add_co_u32 s7, s22, s7
	s_add_co_ci_u32 s20, s23, s2
	s_mul_i32 s18, s15, s19
	s_add_co_ci_u32 s19, s13, 0
	s_delay_alu instid0(SALU_CYCLE_1) | instskip(NEXT) | instid1(SALU_CYCLE_1)
	s_add_nc_u64 s[18:19], s[20:21], s[18:19]
	s_add_co_u32 s14, s14, s18
	s_cselect_b32 s2, -1, 0
	s_delay_alu instid0(SALU_CYCLE_1) | instskip(SKIP_1) | instid1(SALU_CYCLE_1)
	s_cmp_lg_u32 s2, 0
	s_add_co_ci_u32 s15, s15, s19
	s_mul_u64 s[16:17], s[16:17], s[14:15]
	s_delay_alu instid0(SALU_CYCLE_1)
	s_mul_hi_u32 s19, s14, s17
	s_mul_i32 s18, s14, s17
	s_mul_hi_u32 s20, s14, s16
	s_mul_i32 s7, s15, s16
	s_add_nc_u64 s[18:19], s[20:21], s[18:19]
	s_mul_hi_u32 s2, s15, s16
	s_mul_hi_u32 s13, s15, s17
	s_add_co_u32 s7, s18, s7
	s_add_co_ci_u32 s20, s19, s2
	s_mul_i32 s16, s15, s17
	s_add_co_ci_u32 s17, s13, 0
	s_delay_alu instid0(SALU_CYCLE_1) | instskip(NEXT) | instid1(SALU_CYCLE_1)
	s_add_nc_u64 s[16:17], s[20:21], s[16:17]
	s_add_co_u32 s2, s14, s16
	s_cselect_b32 s7, -1, 0
	s_delay_alu instid0(SALU_CYCLE_1)
	s_cmp_lg_u32 s7, 0
	s_add_co_ci_u32 s20, s15, s17
	s_mov_b64 s[14:15], 0xffffffff
	v_mul_u64_e32 v[12:13], s[20:21], v[10:11]
	v_mul_hi_u32 v10, v8, s2
	s_and_b64 s[14:15], s[2:3], s[14:15]
	s_delay_alu instid0(VALU_DEP_1) | instskip(SKIP_1) | instid1(VALU_DEP_1)
	v_add_nc_u64_e32 v[12:13], v[10:11], v[12:13]
	v_mov_b32_e32 v10, v9
	v_mul_u64_e32 v[14:15], s[14:15], v[10:11]
	v_mul_u64_e32 v[16:17], s[20:21], v[10:11]
	s_delay_alu instid0(VALU_DEP_2) | instskip(NEXT) | instid1(VALU_DEP_3)
	v_add_co_u32 v1, vcc_lo, v12, v14
	v_add_co_ci_u32_e32 v10, vcc_lo, v13, v15, vcc_lo
	s_delay_alu instid0(VALU_DEP_3) | instskip(NEXT) | instid1(VALU_DEP_1)
	v_add_co_ci_u32_e32 v17, vcc_lo, 0, v17, vcc_lo
	v_add_nc_u64_e32 v[10:11], v[10:11], v[16:17]
	s_delay_alu instid0(VALU_DEP_1) | instskip(NEXT) | instid1(VALU_DEP_1)
	v_mul_u64_e32 v[10:11], s[10:11], v[10:11]
	v_sub_nc_u32_e32 v1, v9, v11
	s_delay_alu instid0(VALU_DEP_2) | instskip(NEXT) | instid1(VALU_DEP_1)
	v_sub_co_u32 v8, vcc_lo, v8, v10
	v_sub_co_ci_u32_e64 v9, null, v9, v11, vcc_lo
	s_delay_alu instid0(VALU_DEP_3) | instskip(NEXT) | instid1(VALU_DEP_3)
	v_subrev_co_ci_u32_e64 v1, null, s11, v1, vcc_lo
	v_sub_co_u32 v10, vcc_lo, v8, s10
	v_cmp_le_u32_e64 s2, s10, v8
	s_delay_alu instid0(VALU_DEP_3) | instskip(SKIP_1) | instid1(VALU_DEP_3)
	v_subrev_co_ci_u32_e64 v11, null, 0, v1, vcc_lo
	v_subrev_co_ci_u32_e64 v1, null, s11, v1, vcc_lo
	v_cndmask_b32_e64 v12, 0, -1, s2
	v_cmp_le_u32_e64 s2, s10, v10
	v_cmp_le_u32_e32 vcc_lo, s11, v9
	s_delay_alu instid0(VALU_DEP_2) | instskip(SKIP_3) | instid1(VALU_DEP_3)
	v_cndmask_b32_e64 v13, 0, -1, s2
	v_cmp_le_u32_e64 s2, s11, v11
	v_cndmask_b32_e64 v15, 0, -1, vcc_lo
	v_cmp_eq_u32_e32 vcc_lo, s11, v11
	v_cndmask_b32_e64 v14, 0, -1, s2
	v_cmp_eq_u32_e64 s2, s11, v9
	s_delay_alu instid0(VALU_DEP_1) | instskip(SKIP_1) | instid1(VALU_DEP_1)
	v_dual_cndmask_b32 v13, v14, v13, vcc_lo :: v_dual_cndmask_b32 v12, v15, v12, s2
	v_sub_co_u32 v14, vcc_lo, v10, s10
	v_subrev_co_ci_u32_e64 v1, null, 0, v1, vcc_lo
	s_delay_alu instid0(VALU_DEP_3) | instskip(NEXT) | instid1(VALU_DEP_2)
	v_cmp_ne_u32_e32 vcc_lo, 0, v13
	v_dual_cndmask_b32 v1, v11, v1 :: v_dual_cndmask_b32 v10, v10, v14
	v_cmp_ne_u32_e32 vcc_lo, 0, v12
	s_delay_alu instid0(VALU_DEP_2) | instskip(NEXT) | instid1(VALU_DEP_1)
	v_dual_cndmask_b32 v9, v9, v1 :: v_dual_cndmask_b32 v8, v8, v10
	v_sub_nc_u64_e64 v[12:13], v[8:9], 0
.LBB53_6:
	s_or_saveexec_b32 s7, s3
	s_load_b64 s[2:3], s[0:1], 0x68
	s_xor_b32 exec_lo, exec_lo, s7
	s_cbranch_execz .LBB53_8
; %bb.7:
	v_cvt_f32_u32_e32 v1, s6
	s_sub_co_i32 s10, 0, s6
	v_mov_b32_e32 v13, 0
	s_delay_alu instid0(VALU_DEP_2) | instskip(SKIP_1) | instid1(TRANS32_DEP_1)
	v_rcp_iflag_f32_e32 v1, v1
	v_nop
	v_mul_f32_e32 v1, 0x4f7ffffe, v1
	s_delay_alu instid0(VALU_DEP_1) | instskip(NEXT) | instid1(VALU_DEP_1)
	v_cvt_u32_f32_e32 v1, v1
	v_mul_lo_u32 v8, s10, v1
	s_delay_alu instid0(VALU_DEP_1) | instskip(NEXT) | instid1(VALU_DEP_1)
	v_mul_hi_u32 v8, v1, v8
	v_add_nc_u32_e32 v1, v1, v8
	s_delay_alu instid0(VALU_DEP_1) | instskip(NEXT) | instid1(VALU_DEP_1)
	v_mul_hi_u32 v1, v6, v1
	v_mul_lo_u32 v1, v1, s6
	s_delay_alu instid0(VALU_DEP_1) | instskip(NEXT) | instid1(VALU_DEP_1)
	v_sub_nc_u32_e32 v1, v6, v1
	v_subrev_nc_u32_e32 v8, s6, v1
	v_cmp_le_u32_e32 vcc_lo, s6, v1
	s_delay_alu instid0(VALU_DEP_2) | instskip(NEXT) | instid1(VALU_DEP_1)
	v_cndmask_b32_e32 v1, v1, v8, vcc_lo
	v_subrev_nc_u32_e32 v8, s6, v1
	v_cmp_le_u32_e32 vcc_lo, s6, v1
	s_delay_alu instid0(VALU_DEP_2)
	v_cndmask_b32_e32 v12, v1, v8, vcc_lo
.LBB53_8:
	s_or_b32 exec_lo, exec_lo, s7
	s_wait_kmcnt 0x0
	v_lshl_add_u64 v[8:9], v[6:7], 3, s[2:3]
	s_mov_b32 s13, 0
	global_load_b64 v[8:9], v[8:9], off
	s_wait_loadcnt 0x0
	v_sub_nc_u64_e64 v[8:9], v[8:9], s[12:13]
	s_delay_alu instid0(VALU_DEP_1)
	v_cmp_lt_i64_e32 vcc_lo, -1, v[8:9]
	s_and_b32 exec_lo, exec_lo, vcc_lo
	s_cbranch_execz .LBB53_30
; %bb.9:
	s_clause 0x1
	s_load_b128 s[12:15], s[0:1], 0x0
	s_load_b64 s[2:3], s[0:1], 0x40
	s_wait_kmcnt 0x0
	s_cmp_eq_u32 s14, 1
	s_cselect_b32 s6, -1, 0
	s_cmp_eq_u32 s12, 0x6f
	s_cselect_b32 s7, -1, 0
	s_cmp_lg_u32 s12, 0x6f
	s_cselect_b32 s10, -1, 0
	s_cmp_lg_u32 s14, 1
	s_cbranch_scc0 .LBB53_13
; %bb.10:
	v_mov_b64_e32 v[10:11], v[12:13]
	s_and_not1_b32 vcc_lo, exec_lo, s7
	s_cbranch_vccnz .LBB53_12
; %bb.11:
	v_mul_u64_e32 v[10:11], s[2:3], v[12:13]
.LBB53_12:
	s_cbranch_execz .LBB53_14
	s_branch .LBB53_17
.LBB53_13:
                                        ; implicit-def: $vgpr10_vgpr11
.LBB53_14:
	s_and_not1_b32 vcc_lo, exec_lo, s10
	s_cbranch_vccnz .LBB53_16
; %bb.15:
	v_mul_u64_e32 v[12:13], s[2:3], v[12:13]
.LBB53_16:
	s_delay_alu instid0(VALU_DEP_1)
	v_mov_b64_e32 v[10:11], v[12:13]
.LBB53_17:
	s_cmp_eq_u32 s15, 1
	s_cselect_b32 s10, -1, 0
	s_cmp_eq_u32 s13, 0x6f
	s_cselect_b32 s11, -1, 0
	s_cmp_lg_u32 s13, 0x6f
	s_cselect_b32 s12, -1, 0
	s_cmp_lg_u32 s15, 1
	s_cbranch_scc0 .LBB53_21
; %bb.18:
	v_mov_b64_e32 v[12:13], v[8:9]
	s_and_not1_b32 vcc_lo, exec_lo, s12
	s_cbranch_vccnz .LBB53_20
; %bb.19:
	v_mul_u64_e32 v[12:13], s[4:5], v[8:9]
.LBB53_20:
	s_cbranch_execz .LBB53_22
	s_branch .LBB53_25
.LBB53_21:
                                        ; implicit-def: $vgpr12_vgpr13
.LBB53_22:
	s_and_not1_b32 vcc_lo, exec_lo, s11
	s_cbranch_vccnz .LBB53_24
; %bb.23:
	v_mul_u64_e32 v[8:9], s[4:5], v[8:9]
.LBB53_24:
	s_delay_alu instid0(VALU_DEP_1)
	v_mov_b64_e32 v[12:13], v[8:9]
.LBB53_25:
	v_cmp_lt_i64_e64 s12, s[8:9], 1
	s_and_b32 vcc_lo, exec_lo, s12
	s_cbranch_vccnz .LBB53_28
; %bb.26:
	s_clause 0x1
	s_load_b64 s[12:13], s[0:1], 0x38
	s_load_b64 s[14:15], s[0:1], 0x48
	s_xor_b32 s6, s7, s6
	v_mov_b32_e32 v8, 0
	s_and_b32 s6, s6, exec_lo
	s_cselect_b32 s7, 0, s3
	s_cselect_b32 s6, 1, s2
	s_xor_b32 s2, s11, s10
	v_mov_b32_e32 v9, v8
	s_and_b32 s2, s2, exec_lo
	s_cselect_b32 s3, s5, 0
	s_cselect_b32 s2, s4, 1
	s_lshl_b64 s[4:5], s[6:7], 3
	s_lshl_b64 s[2:3], s[2:3], 3
	s_wait_kmcnt 0x0
	v_lshl_add_u64 v[10:11], v[10:11], 3, s[12:13]
	v_lshl_add_u64 v[12:13], v[12:13], 3, s[14:15]
	s_delay_alu instid0(VALU_DEP_1)
	v_add_nc_u64_e32 v[12:13], 4, v[12:13]
.LBB53_27:                              ; =>This Inner Loop Header: Depth=1
	global_load_b64 v[14:15], v[10:11], off
	global_load_b64 v[16:17], v[12:13], off offset:-4
	s_wait_xcnt 0x0
	v_add_nc_u64_e32 v[12:13], s[2:3], v[12:13]
	v_add_nc_u64_e32 v[10:11], s[4:5], v[10:11]
	s_add_nc_u64 s[8:9], s[8:9], -1
	s_delay_alu instid0(SALU_CYCLE_1) | instskip(SKIP_2) | instid1(VALU_DEP_1)
	s_cmp_eq_u64 s[8:9], 0
	s_wait_loadcnt 0x0
	v_pk_mul_f32 v[18:19], v[16:17], v[14:15] op_sel:[1,1] op_sel_hi:[1,0] neg_lo:[0,1]
	v_pk_fma_f32 v[14:15], v[14:15], v[16:17], v[18:19] op_sel_hi:[1,0,1]
	s_delay_alu instid0(VALU_DEP_1)
	v_pk_add_f32 v[8:9], v[8:9], v[14:15]
	s_cbranch_scc0 .LBB53_27
	s_branch .LBB53_29
.LBB53_28:
	v_mov_b32_e32 v9, 0
	s_delay_alu instid0(VALU_DEP_1)
	v_mov_b32_e32 v8, v9
.LBB53_29:
	s_load_b64 s[0:1], s[0:1], 0x60
	v_lshlrev_b32_e32 v10, 3, v0
	ds_store_b64 v10, v[8:9]
	s_wait_dscnt 0x0
	s_barrier_signal -1
	s_barrier_wait -1
	ds_load_b64 v[8:9], v10
	v_mov_b32_e32 v10, v5
	s_wait_kmcnt 0x0
	v_lshl_add_u64 v[0:1], v[6:7], 3, s[0:1]
	global_load_b64 v[6:7], v[0:1], off
	s_wait_dscnt 0x0
	v_pk_mul_f32 v[12:13], v[8:9], v[2:3] op_sel:[1,1] op_sel_hi:[1,0] neg_lo:[0,1]
	s_delay_alu instid0(VALU_DEP_1) | instskip(SKIP_2) | instid1(VALU_DEP_1)
	v_pk_fma_f32 v[2:3], v[2:3], v[8:9], v[12:13] op_sel_hi:[1,0,1]
	s_wait_loadcnt 0x0
	v_pk_mul_f32 v[10:11], v[10:11], v[6:7] op_sel:[0,1] op_sel_hi:[0,0] neg_lo:[0,1]
	v_pk_fma_f32 v[4:5], v[6:7], v[4:5], v[10:11] op_sel_hi:[1,0,1]
	s_delay_alu instid0(VALU_DEP_1)
	v_pk_add_f32 v[2:3], v[2:3], v[4:5]
	global_store_b64 v[0:1], v[2:3], off
.LBB53_30:
	s_endpgm
	.section	.rodata,"a",@progbits
	.p2align	6, 0x0
	.amdhsa_kernel _ZN9rocsparseL16sddmm_ell_kernelILi512ELi1E21rocsparse_complex_numIfEllS2_S2_S2_EEv20rocsparse_operation_S3_16rocsparse_order_S4_T3_S5_S5_T2_NS_24const_host_device_scalarIT1_EEPKT4_lPKT5_lS9_PT6_PKS5_21rocsparse_index_base_b
		.amdhsa_group_segment_fixed_size 4096
		.amdhsa_private_segment_fixed_size 0
		.amdhsa_kernarg_size 120
		.amdhsa_user_sgpr_count 2
		.amdhsa_user_sgpr_dispatch_ptr 0
		.amdhsa_user_sgpr_queue_ptr 0
		.amdhsa_user_sgpr_kernarg_segment_ptr 1
		.amdhsa_user_sgpr_dispatch_id 0
		.amdhsa_user_sgpr_kernarg_preload_length 0
		.amdhsa_user_sgpr_kernarg_preload_offset 0
		.amdhsa_user_sgpr_private_segment_size 0
		.amdhsa_wavefront_size32 1
		.amdhsa_uses_dynamic_stack 0
		.amdhsa_enable_private_segment 0
		.amdhsa_system_sgpr_workgroup_id_x 1
		.amdhsa_system_sgpr_workgroup_id_y 0
		.amdhsa_system_sgpr_workgroup_id_z 0
		.amdhsa_system_sgpr_workgroup_info 0
		.amdhsa_system_vgpr_workitem_id 0
		.amdhsa_next_free_vgpr 20
		.amdhsa_next_free_sgpr 24
		.amdhsa_named_barrier_count 0
		.amdhsa_reserve_vcc 1
		.amdhsa_float_round_mode_32 0
		.amdhsa_float_round_mode_16_64 0
		.amdhsa_float_denorm_mode_32 3
		.amdhsa_float_denorm_mode_16_64 3
		.amdhsa_fp16_overflow 0
		.amdhsa_memory_ordered 1
		.amdhsa_forward_progress 1
		.amdhsa_inst_pref_size 13
		.amdhsa_round_robin_scheduling 0
		.amdhsa_exception_fp_ieee_invalid_op 0
		.amdhsa_exception_fp_denorm_src 0
		.amdhsa_exception_fp_ieee_div_zero 0
		.amdhsa_exception_fp_ieee_overflow 0
		.amdhsa_exception_fp_ieee_underflow 0
		.amdhsa_exception_fp_ieee_inexact 0
		.amdhsa_exception_int_div_zero 0
	.end_amdhsa_kernel
	.section	.text._ZN9rocsparseL16sddmm_ell_kernelILi512ELi1E21rocsparse_complex_numIfEllS2_S2_S2_EEv20rocsparse_operation_S3_16rocsparse_order_S4_T3_S5_S5_T2_NS_24const_host_device_scalarIT1_EEPKT4_lPKT5_lS9_PT6_PKS5_21rocsparse_index_base_b,"axG",@progbits,_ZN9rocsparseL16sddmm_ell_kernelILi512ELi1E21rocsparse_complex_numIfEllS2_S2_S2_EEv20rocsparse_operation_S3_16rocsparse_order_S4_T3_S5_S5_T2_NS_24const_host_device_scalarIT1_EEPKT4_lPKT5_lS9_PT6_PKS5_21rocsparse_index_base_b,comdat
.Lfunc_end53:
	.size	_ZN9rocsparseL16sddmm_ell_kernelILi512ELi1E21rocsparse_complex_numIfEllS2_S2_S2_EEv20rocsparse_operation_S3_16rocsparse_order_S4_T3_S5_S5_T2_NS_24const_host_device_scalarIT1_EEPKT4_lPKT5_lS9_PT6_PKS5_21rocsparse_index_base_b, .Lfunc_end53-_ZN9rocsparseL16sddmm_ell_kernelILi512ELi1E21rocsparse_complex_numIfEllS2_S2_S2_EEv20rocsparse_operation_S3_16rocsparse_order_S4_T3_S5_S5_T2_NS_24const_host_device_scalarIT1_EEPKT4_lPKT5_lS9_PT6_PKS5_21rocsparse_index_base_b
                                        ; -- End function
	.set _ZN9rocsparseL16sddmm_ell_kernelILi512ELi1E21rocsparse_complex_numIfEllS2_S2_S2_EEv20rocsparse_operation_S3_16rocsparse_order_S4_T3_S5_S5_T2_NS_24const_host_device_scalarIT1_EEPKT4_lPKT5_lS9_PT6_PKS5_21rocsparse_index_base_b.num_vgpr, 20
	.set _ZN9rocsparseL16sddmm_ell_kernelILi512ELi1E21rocsparse_complex_numIfEllS2_S2_S2_EEv20rocsparse_operation_S3_16rocsparse_order_S4_T3_S5_S5_T2_NS_24const_host_device_scalarIT1_EEPKT4_lPKT5_lS9_PT6_PKS5_21rocsparse_index_base_b.num_agpr, 0
	.set _ZN9rocsparseL16sddmm_ell_kernelILi512ELi1E21rocsparse_complex_numIfEllS2_S2_S2_EEv20rocsparse_operation_S3_16rocsparse_order_S4_T3_S5_S5_T2_NS_24const_host_device_scalarIT1_EEPKT4_lPKT5_lS9_PT6_PKS5_21rocsparse_index_base_b.numbered_sgpr, 24
	.set _ZN9rocsparseL16sddmm_ell_kernelILi512ELi1E21rocsparse_complex_numIfEllS2_S2_S2_EEv20rocsparse_operation_S3_16rocsparse_order_S4_T3_S5_S5_T2_NS_24const_host_device_scalarIT1_EEPKT4_lPKT5_lS9_PT6_PKS5_21rocsparse_index_base_b.num_named_barrier, 0
	.set _ZN9rocsparseL16sddmm_ell_kernelILi512ELi1E21rocsparse_complex_numIfEllS2_S2_S2_EEv20rocsparse_operation_S3_16rocsparse_order_S4_T3_S5_S5_T2_NS_24const_host_device_scalarIT1_EEPKT4_lPKT5_lS9_PT6_PKS5_21rocsparse_index_base_b.private_seg_size, 0
	.set _ZN9rocsparseL16sddmm_ell_kernelILi512ELi1E21rocsparse_complex_numIfEllS2_S2_S2_EEv20rocsparse_operation_S3_16rocsparse_order_S4_T3_S5_S5_T2_NS_24const_host_device_scalarIT1_EEPKT4_lPKT5_lS9_PT6_PKS5_21rocsparse_index_base_b.uses_vcc, 1
	.set _ZN9rocsparseL16sddmm_ell_kernelILi512ELi1E21rocsparse_complex_numIfEllS2_S2_S2_EEv20rocsparse_operation_S3_16rocsparse_order_S4_T3_S5_S5_T2_NS_24const_host_device_scalarIT1_EEPKT4_lPKT5_lS9_PT6_PKS5_21rocsparse_index_base_b.uses_flat_scratch, 0
	.set _ZN9rocsparseL16sddmm_ell_kernelILi512ELi1E21rocsparse_complex_numIfEllS2_S2_S2_EEv20rocsparse_operation_S3_16rocsparse_order_S4_T3_S5_S5_T2_NS_24const_host_device_scalarIT1_EEPKT4_lPKT5_lS9_PT6_PKS5_21rocsparse_index_base_b.has_dyn_sized_stack, 0
	.set _ZN9rocsparseL16sddmm_ell_kernelILi512ELi1E21rocsparse_complex_numIfEllS2_S2_S2_EEv20rocsparse_operation_S3_16rocsparse_order_S4_T3_S5_S5_T2_NS_24const_host_device_scalarIT1_EEPKT4_lPKT5_lS9_PT6_PKS5_21rocsparse_index_base_b.has_recursion, 0
	.set _ZN9rocsparseL16sddmm_ell_kernelILi512ELi1E21rocsparse_complex_numIfEllS2_S2_S2_EEv20rocsparse_operation_S3_16rocsparse_order_S4_T3_S5_S5_T2_NS_24const_host_device_scalarIT1_EEPKT4_lPKT5_lS9_PT6_PKS5_21rocsparse_index_base_b.has_indirect_call, 0
	.section	.AMDGPU.csdata,"",@progbits
; Kernel info:
; codeLenInByte = 1620
; TotalNumSgprs: 26
; NumVgprs: 20
; ScratchSize: 0
; MemoryBound: 0
; FloatMode: 240
; IeeeMode: 1
; LDSByteSize: 4096 bytes/workgroup (compile time only)
; SGPRBlocks: 0
; VGPRBlocks: 1
; NumSGPRsForWavesPerEU: 26
; NumVGPRsForWavesPerEU: 20
; NamedBarCnt: 0
; Occupancy: 16
; WaveLimiterHint : 0
; COMPUTE_PGM_RSRC2:SCRATCH_EN: 0
; COMPUTE_PGM_RSRC2:USER_SGPR: 2
; COMPUTE_PGM_RSRC2:TRAP_HANDLER: 0
; COMPUTE_PGM_RSRC2:TGID_X_EN: 1
; COMPUTE_PGM_RSRC2:TGID_Y_EN: 0
; COMPUTE_PGM_RSRC2:TGID_Z_EN: 0
; COMPUTE_PGM_RSRC2:TIDIG_COMP_CNT: 0
	.section	.text._ZN9rocsparseL23sddmm_ell_sample_kernelILi16ELi32E21rocsparse_complex_numIdElS2_EEvT2_S3_PKT3_lS3_PS4_PKS3_21rocsparse_index_base_,"axG",@progbits,_ZN9rocsparseL23sddmm_ell_sample_kernelILi16ELi32E21rocsparse_complex_numIdElS2_EEvT2_S3_PKT3_lS3_PS4_PKS3_21rocsparse_index_base_,comdat
	.globl	_ZN9rocsparseL23sddmm_ell_sample_kernelILi16ELi32E21rocsparse_complex_numIdElS2_EEvT2_S3_PKT3_lS3_PS4_PKS3_21rocsparse_index_base_ ; -- Begin function _ZN9rocsparseL23sddmm_ell_sample_kernelILi16ELi32E21rocsparse_complex_numIdElS2_EEvT2_S3_PKT3_lS3_PS4_PKS3_21rocsparse_index_base_
	.p2align	8
	.type	_ZN9rocsparseL23sddmm_ell_sample_kernelILi16ELi32E21rocsparse_complex_numIdElS2_EEvT2_S3_PKT3_lS3_PS4_PKS3_21rocsparse_index_base_,@function
_ZN9rocsparseL23sddmm_ell_sample_kernelILi16ELi32E21rocsparse_complex_numIdElS2_EEvT2_S3_PKT3_lS3_PS4_PKS3_21rocsparse_index_base_: ; @_ZN9rocsparseL23sddmm_ell_sample_kernelILi16ELi32E21rocsparse_complex_numIdElS2_EEvT2_S3_PKT3_lS3_PS4_PKS3_21rocsparse_index_base_
; %bb.0:
	s_load_b128 s[8:11], s[0:1], 0x18
	s_bfe_u32 s2, ttmp6, 0x4000c
	s_and_b32 s3, ttmp6, 15
	s_add_co_i32 s2, s2, 1
	s_getreg_b32 s4, hwreg(HW_REG_IB_STS2, 6, 4)
	s_mul_i32 s2, ttmp9, s2
	v_dual_mov_b32 v1, 0 :: v_dual_lshrrev_b32 v2, 5, v0
	s_add_co_i32 s3, s3, s2
	s_cmp_eq_u32 s4, 0
	s_cselect_b32 s2, ttmp9, s3
	s_delay_alu instid0(VALU_DEP_1) | instskip(SKIP_3) | instid1(VALU_DEP_1)
	v_mov_b32_e32 v3, v1
	v_lshl_or_b32 v2, s2, 4, v2
	s_mov_b32 s2, exec_lo
	s_wait_kmcnt 0x0
	v_cmpx_gt_i64_e64 s[10:11], v[2:3]
	s_cbranch_execz .LBB54_6
; %bb.1:
	s_load_b128 s[4:7], s[0:1], 0x0
	v_and_b32_e32 v0, 31, v0
	s_wait_kmcnt 0x0
	s_delay_alu instid0(VALU_DEP_1)
	v_cmp_gt_i64_e32 vcc_lo, s[4:5], v[0:1]
	s_and_b32 exec_lo, exec_lo, vcc_lo
	s_cbranch_execz .LBB54_6
; %bb.2:
	v_mad_nc_u64_u32 v[6:7], s4, v2, v[0:1]
	s_clause 0x2
	s_load_b64 s[10:11], s[0:1], 0x10
	s_load_b128 s[12:15], s[0:1], 0x28
	s_load_b32 s2, s[0:1], 0x38
	s_mov_b32 s3, 0
	s_lshl_b64 s[8:9], s[8:9], 4
	s_wait_xcnt 0x0
	s_mov_b32 s1, s3
	v_mov_b32_e32 v3, 0
	s_delay_alu instid0(VALU_DEP_2) | instskip(SKIP_2) | instid1(VALU_DEP_1)
	v_mad_u32 v7, s5, v2, v7
	v_lshlrev_b32_e32 v2, 4, v0
	s_wait_kmcnt 0x0
	v_add_nc_u64_e32 v[2:3], s[10:11], v[2:3]
	s_delay_alu instid0(VALU_DEP_3)
	v_lshl_add_u64 v[4:5], v[6:7], 3, s[14:15]
	v_lshl_add_u64 v[6:7], v[6:7], 4, s[12:13]
	s_branch .LBB54_4
.LBB54_3:                               ;   in Loop: Header=BB54_4 Depth=1
	s_wait_xcnt 0x0
	s_or_b32 exec_lo, exec_lo, s0
	v_add_nc_u64_e32 v[0:1], 32, v[0:1]
	v_add_nc_u64_e32 v[4:5], 0x100, v[4:5]
	;; [unrolled: 1-line block ×4, first 2 shown]
	s_delay_alu instid0(VALU_DEP_4) | instskip(SKIP_1) | instid1(SALU_CYCLE_1)
	v_cmp_le_i64_e32 vcc_lo, s[4:5], v[0:1]
	s_or_b32 s1, vcc_lo, s1
	s_and_not1_b32 exec_lo, exec_lo, s1
	s_cbranch_execz .LBB54_6
.LBB54_4:                               ; =>This Inner Loop Header: Depth=1
	global_load_b64 v[8:9], v[4:5], off
	s_wait_loadcnt 0x0
	v_sub_nc_u64_e64 v[8:9], v[8:9], s[2:3]
	s_delay_alu instid0(VALU_DEP_1)
	v_cmp_lt_i64_e32 vcc_lo, -1, v[8:9]
	v_cmp_gt_i64_e64 s0, s[6:7], v[8:9]
	s_and_b32 s10, vcc_lo, s0
	s_wait_xcnt 0x0
	s_and_saveexec_b32 s0, s10
	s_cbranch_execz .LBB54_3
; %bb.5:                                ;   in Loop: Header=BB54_4 Depth=1
	v_mad_nc_u64_u32 v[10:11], s8, v8, v[2:3]
	s_delay_alu instid0(VALU_DEP_1) | instskip(NEXT) | instid1(VALU_DEP_1)
	v_mad_u32 v8, s9, v8, v11
	v_mad_u32 v11, s8, v9, v8
	global_load_b128 v[8:11], v[10:11], off
	s_wait_loadcnt 0x0
	global_store_b128 v[6:7], v[8:11], off
	s_branch .LBB54_3
.LBB54_6:
	s_endpgm
	.section	.rodata,"a",@progbits
	.p2align	6, 0x0
	.amdhsa_kernel _ZN9rocsparseL23sddmm_ell_sample_kernelILi16ELi32E21rocsparse_complex_numIdElS2_EEvT2_S3_PKT3_lS3_PS4_PKS3_21rocsparse_index_base_
		.amdhsa_group_segment_fixed_size 0
		.amdhsa_private_segment_fixed_size 0
		.amdhsa_kernarg_size 60
		.amdhsa_user_sgpr_count 2
		.amdhsa_user_sgpr_dispatch_ptr 0
		.amdhsa_user_sgpr_queue_ptr 0
		.amdhsa_user_sgpr_kernarg_segment_ptr 1
		.amdhsa_user_sgpr_dispatch_id 0
		.amdhsa_user_sgpr_kernarg_preload_length 0
		.amdhsa_user_sgpr_kernarg_preload_offset 0
		.amdhsa_user_sgpr_private_segment_size 0
		.amdhsa_wavefront_size32 1
		.amdhsa_uses_dynamic_stack 0
		.amdhsa_enable_private_segment 0
		.amdhsa_system_sgpr_workgroup_id_x 1
		.amdhsa_system_sgpr_workgroup_id_y 0
		.amdhsa_system_sgpr_workgroup_id_z 0
		.amdhsa_system_sgpr_workgroup_info 0
		.amdhsa_system_vgpr_workitem_id 0
		.amdhsa_next_free_vgpr 12
		.amdhsa_next_free_sgpr 16
		.amdhsa_named_barrier_count 0
		.amdhsa_reserve_vcc 1
		.amdhsa_float_round_mode_32 0
		.amdhsa_float_round_mode_16_64 0
		.amdhsa_float_denorm_mode_32 3
		.amdhsa_float_denorm_mode_16_64 3
		.amdhsa_fp16_overflow 0
		.amdhsa_memory_ordered 1
		.amdhsa_forward_progress 1
		.amdhsa_inst_pref_size 4
		.amdhsa_round_robin_scheduling 0
		.amdhsa_exception_fp_ieee_invalid_op 0
		.amdhsa_exception_fp_denorm_src 0
		.amdhsa_exception_fp_ieee_div_zero 0
		.amdhsa_exception_fp_ieee_overflow 0
		.amdhsa_exception_fp_ieee_underflow 0
		.amdhsa_exception_fp_ieee_inexact 0
		.amdhsa_exception_int_div_zero 0
	.end_amdhsa_kernel
	.section	.text._ZN9rocsparseL23sddmm_ell_sample_kernelILi16ELi32E21rocsparse_complex_numIdElS2_EEvT2_S3_PKT3_lS3_PS4_PKS3_21rocsparse_index_base_,"axG",@progbits,_ZN9rocsparseL23sddmm_ell_sample_kernelILi16ELi32E21rocsparse_complex_numIdElS2_EEvT2_S3_PKT3_lS3_PS4_PKS3_21rocsparse_index_base_,comdat
.Lfunc_end54:
	.size	_ZN9rocsparseL23sddmm_ell_sample_kernelILi16ELi32E21rocsparse_complex_numIdElS2_EEvT2_S3_PKT3_lS3_PS4_PKS3_21rocsparse_index_base_, .Lfunc_end54-_ZN9rocsparseL23sddmm_ell_sample_kernelILi16ELi32E21rocsparse_complex_numIdElS2_EEvT2_S3_PKT3_lS3_PS4_PKS3_21rocsparse_index_base_
                                        ; -- End function
	.set _ZN9rocsparseL23sddmm_ell_sample_kernelILi16ELi32E21rocsparse_complex_numIdElS2_EEvT2_S3_PKT3_lS3_PS4_PKS3_21rocsparse_index_base_.num_vgpr, 12
	.set _ZN9rocsparseL23sddmm_ell_sample_kernelILi16ELi32E21rocsparse_complex_numIdElS2_EEvT2_S3_PKT3_lS3_PS4_PKS3_21rocsparse_index_base_.num_agpr, 0
	.set _ZN9rocsparseL23sddmm_ell_sample_kernelILi16ELi32E21rocsparse_complex_numIdElS2_EEvT2_S3_PKT3_lS3_PS4_PKS3_21rocsparse_index_base_.numbered_sgpr, 16
	.set _ZN9rocsparseL23sddmm_ell_sample_kernelILi16ELi32E21rocsparse_complex_numIdElS2_EEvT2_S3_PKT3_lS3_PS4_PKS3_21rocsparse_index_base_.num_named_barrier, 0
	.set _ZN9rocsparseL23sddmm_ell_sample_kernelILi16ELi32E21rocsparse_complex_numIdElS2_EEvT2_S3_PKT3_lS3_PS4_PKS3_21rocsparse_index_base_.private_seg_size, 0
	.set _ZN9rocsparseL23sddmm_ell_sample_kernelILi16ELi32E21rocsparse_complex_numIdElS2_EEvT2_S3_PKT3_lS3_PS4_PKS3_21rocsparse_index_base_.uses_vcc, 1
	.set _ZN9rocsparseL23sddmm_ell_sample_kernelILi16ELi32E21rocsparse_complex_numIdElS2_EEvT2_S3_PKT3_lS3_PS4_PKS3_21rocsparse_index_base_.uses_flat_scratch, 0
	.set _ZN9rocsparseL23sddmm_ell_sample_kernelILi16ELi32E21rocsparse_complex_numIdElS2_EEvT2_S3_PKT3_lS3_PS4_PKS3_21rocsparse_index_base_.has_dyn_sized_stack, 0
	.set _ZN9rocsparseL23sddmm_ell_sample_kernelILi16ELi32E21rocsparse_complex_numIdElS2_EEvT2_S3_PKT3_lS3_PS4_PKS3_21rocsparse_index_base_.has_recursion, 0
	.set _ZN9rocsparseL23sddmm_ell_sample_kernelILi16ELi32E21rocsparse_complex_numIdElS2_EEvT2_S3_PKT3_lS3_PS4_PKS3_21rocsparse_index_base_.has_indirect_call, 0
	.section	.AMDGPU.csdata,"",@progbits
; Kernel info:
; codeLenInByte = 400
; TotalNumSgprs: 18
; NumVgprs: 12
; ScratchSize: 0
; MemoryBound: 0
; FloatMode: 240
; IeeeMode: 1
; LDSByteSize: 0 bytes/workgroup (compile time only)
; SGPRBlocks: 0
; VGPRBlocks: 0
; NumSGPRsForWavesPerEU: 18
; NumVGPRsForWavesPerEU: 12
; NamedBarCnt: 0
; Occupancy: 16
; WaveLimiterHint : 0
; COMPUTE_PGM_RSRC2:SCRATCH_EN: 0
; COMPUTE_PGM_RSRC2:USER_SGPR: 2
; COMPUTE_PGM_RSRC2:TRAP_HANDLER: 0
; COMPUTE_PGM_RSRC2:TGID_X_EN: 1
; COMPUTE_PGM_RSRC2:TGID_Y_EN: 0
; COMPUTE_PGM_RSRC2:TGID_Z_EN: 0
; COMPUTE_PGM_RSRC2:TIDIG_COMP_CNT: 0
	.section	.text._ZN9rocsparseL23sddmm_ell_sample_kernelILi16ELi64E21rocsparse_complex_numIdElS2_EEvT2_S3_PKT3_lS3_PS4_PKS3_21rocsparse_index_base_,"axG",@progbits,_ZN9rocsparseL23sddmm_ell_sample_kernelILi16ELi64E21rocsparse_complex_numIdElS2_EEvT2_S3_PKT3_lS3_PS4_PKS3_21rocsparse_index_base_,comdat
	.globl	_ZN9rocsparseL23sddmm_ell_sample_kernelILi16ELi64E21rocsparse_complex_numIdElS2_EEvT2_S3_PKT3_lS3_PS4_PKS3_21rocsparse_index_base_ ; -- Begin function _ZN9rocsparseL23sddmm_ell_sample_kernelILi16ELi64E21rocsparse_complex_numIdElS2_EEvT2_S3_PKT3_lS3_PS4_PKS3_21rocsparse_index_base_
	.p2align	8
	.type	_ZN9rocsparseL23sddmm_ell_sample_kernelILi16ELi64E21rocsparse_complex_numIdElS2_EEvT2_S3_PKT3_lS3_PS4_PKS3_21rocsparse_index_base_,@function
_ZN9rocsparseL23sddmm_ell_sample_kernelILi16ELi64E21rocsparse_complex_numIdElS2_EEvT2_S3_PKT3_lS3_PS4_PKS3_21rocsparse_index_base_: ; @_ZN9rocsparseL23sddmm_ell_sample_kernelILi16ELi64E21rocsparse_complex_numIdElS2_EEvT2_S3_PKT3_lS3_PS4_PKS3_21rocsparse_index_base_
; %bb.0:
	s_load_b128 s[8:11], s[0:1], 0x18
	s_bfe_u32 s2, ttmp6, 0x4000c
	s_and_b32 s3, ttmp6, 15
	s_add_co_i32 s2, s2, 1
	s_getreg_b32 s4, hwreg(HW_REG_IB_STS2, 6, 4)
	s_mul_i32 s2, ttmp9, s2
	v_dual_mov_b32 v1, 0 :: v_dual_lshrrev_b32 v2, 6, v0
	s_add_co_i32 s3, s3, s2
	s_cmp_eq_u32 s4, 0
	s_cselect_b32 s2, ttmp9, s3
	s_delay_alu instid0(VALU_DEP_1) | instskip(SKIP_3) | instid1(VALU_DEP_1)
	v_mov_b32_e32 v3, v1
	v_lshl_or_b32 v2, s2, 4, v2
	s_mov_b32 s2, exec_lo
	s_wait_kmcnt 0x0
	v_cmpx_gt_i64_e64 s[10:11], v[2:3]
	s_cbranch_execz .LBB55_6
; %bb.1:
	s_load_b128 s[4:7], s[0:1], 0x0
	v_and_b32_e32 v0, 63, v0
	s_wait_kmcnt 0x0
	s_delay_alu instid0(VALU_DEP_1)
	v_cmp_gt_i64_e32 vcc_lo, s[4:5], v[0:1]
	s_and_b32 exec_lo, exec_lo, vcc_lo
	s_cbranch_execz .LBB55_6
; %bb.2:
	v_mad_nc_u64_u32 v[6:7], s4, v2, v[0:1]
	s_clause 0x2
	s_load_b64 s[10:11], s[0:1], 0x10
	s_load_b128 s[12:15], s[0:1], 0x28
	s_load_b32 s2, s[0:1], 0x38
	s_mov_b32 s3, 0
	s_lshl_b64 s[8:9], s[8:9], 4
	s_wait_xcnt 0x0
	s_mov_b32 s1, s3
	v_mov_b32_e32 v3, 0
	s_delay_alu instid0(VALU_DEP_2) | instskip(SKIP_2) | instid1(VALU_DEP_1)
	v_mad_u32 v7, s5, v2, v7
	v_lshlrev_b32_e32 v2, 4, v0
	s_wait_kmcnt 0x0
	v_add_nc_u64_e32 v[2:3], s[10:11], v[2:3]
	s_delay_alu instid0(VALU_DEP_3)
	v_lshl_add_u64 v[4:5], v[6:7], 3, s[14:15]
	v_lshl_add_u64 v[6:7], v[6:7], 4, s[12:13]
	s_branch .LBB55_4
.LBB55_3:                               ;   in Loop: Header=BB55_4 Depth=1
	s_wait_xcnt 0x0
	s_or_b32 exec_lo, exec_lo, s0
	v_add_nc_u64_e32 v[0:1], 64, v[0:1]
	v_add_nc_u64_e32 v[4:5], 0x200, v[4:5]
	;; [unrolled: 1-line block ×4, first 2 shown]
	s_delay_alu instid0(VALU_DEP_4) | instskip(SKIP_1) | instid1(SALU_CYCLE_1)
	v_cmp_le_i64_e32 vcc_lo, s[4:5], v[0:1]
	s_or_b32 s1, vcc_lo, s1
	s_and_not1_b32 exec_lo, exec_lo, s1
	s_cbranch_execz .LBB55_6
.LBB55_4:                               ; =>This Inner Loop Header: Depth=1
	global_load_b64 v[8:9], v[4:5], off
	s_wait_loadcnt 0x0
	v_sub_nc_u64_e64 v[8:9], v[8:9], s[2:3]
	s_delay_alu instid0(VALU_DEP_1)
	v_cmp_lt_i64_e32 vcc_lo, -1, v[8:9]
	v_cmp_gt_i64_e64 s0, s[6:7], v[8:9]
	s_and_b32 s10, vcc_lo, s0
	s_wait_xcnt 0x0
	s_and_saveexec_b32 s0, s10
	s_cbranch_execz .LBB55_3
; %bb.5:                                ;   in Loop: Header=BB55_4 Depth=1
	v_mad_nc_u64_u32 v[10:11], s8, v8, v[2:3]
	s_delay_alu instid0(VALU_DEP_1) | instskip(NEXT) | instid1(VALU_DEP_1)
	v_mad_u32 v8, s9, v8, v11
	v_mad_u32 v11, s8, v9, v8
	global_load_b128 v[8:11], v[10:11], off
	s_wait_loadcnt 0x0
	global_store_b128 v[6:7], v[8:11], off
	s_branch .LBB55_3
.LBB55_6:
	s_endpgm
	.section	.rodata,"a",@progbits
	.p2align	6, 0x0
	.amdhsa_kernel _ZN9rocsparseL23sddmm_ell_sample_kernelILi16ELi64E21rocsparse_complex_numIdElS2_EEvT2_S3_PKT3_lS3_PS4_PKS3_21rocsparse_index_base_
		.amdhsa_group_segment_fixed_size 0
		.amdhsa_private_segment_fixed_size 0
		.amdhsa_kernarg_size 60
		.amdhsa_user_sgpr_count 2
		.amdhsa_user_sgpr_dispatch_ptr 0
		.amdhsa_user_sgpr_queue_ptr 0
		.amdhsa_user_sgpr_kernarg_segment_ptr 1
		.amdhsa_user_sgpr_dispatch_id 0
		.amdhsa_user_sgpr_kernarg_preload_length 0
		.amdhsa_user_sgpr_kernarg_preload_offset 0
		.amdhsa_user_sgpr_private_segment_size 0
		.amdhsa_wavefront_size32 1
		.amdhsa_uses_dynamic_stack 0
		.amdhsa_enable_private_segment 0
		.amdhsa_system_sgpr_workgroup_id_x 1
		.amdhsa_system_sgpr_workgroup_id_y 0
		.amdhsa_system_sgpr_workgroup_id_z 0
		.amdhsa_system_sgpr_workgroup_info 0
		.amdhsa_system_vgpr_workitem_id 0
		.amdhsa_next_free_vgpr 12
		.amdhsa_next_free_sgpr 16
		.amdhsa_named_barrier_count 0
		.amdhsa_reserve_vcc 1
		.amdhsa_float_round_mode_32 0
		.amdhsa_float_round_mode_16_64 0
		.amdhsa_float_denorm_mode_32 3
		.amdhsa_float_denorm_mode_16_64 3
		.amdhsa_fp16_overflow 0
		.amdhsa_memory_ordered 1
		.amdhsa_forward_progress 1
		.amdhsa_inst_pref_size 4
		.amdhsa_round_robin_scheduling 0
		.amdhsa_exception_fp_ieee_invalid_op 0
		.amdhsa_exception_fp_denorm_src 0
		.amdhsa_exception_fp_ieee_div_zero 0
		.amdhsa_exception_fp_ieee_overflow 0
		.amdhsa_exception_fp_ieee_underflow 0
		.amdhsa_exception_fp_ieee_inexact 0
		.amdhsa_exception_int_div_zero 0
	.end_amdhsa_kernel
	.section	.text._ZN9rocsparseL23sddmm_ell_sample_kernelILi16ELi64E21rocsparse_complex_numIdElS2_EEvT2_S3_PKT3_lS3_PS4_PKS3_21rocsparse_index_base_,"axG",@progbits,_ZN9rocsparseL23sddmm_ell_sample_kernelILi16ELi64E21rocsparse_complex_numIdElS2_EEvT2_S3_PKT3_lS3_PS4_PKS3_21rocsparse_index_base_,comdat
.Lfunc_end55:
	.size	_ZN9rocsparseL23sddmm_ell_sample_kernelILi16ELi64E21rocsparse_complex_numIdElS2_EEvT2_S3_PKT3_lS3_PS4_PKS3_21rocsparse_index_base_, .Lfunc_end55-_ZN9rocsparseL23sddmm_ell_sample_kernelILi16ELi64E21rocsparse_complex_numIdElS2_EEvT2_S3_PKT3_lS3_PS4_PKS3_21rocsparse_index_base_
                                        ; -- End function
	.set _ZN9rocsparseL23sddmm_ell_sample_kernelILi16ELi64E21rocsparse_complex_numIdElS2_EEvT2_S3_PKT3_lS3_PS4_PKS3_21rocsparse_index_base_.num_vgpr, 12
	.set _ZN9rocsparseL23sddmm_ell_sample_kernelILi16ELi64E21rocsparse_complex_numIdElS2_EEvT2_S3_PKT3_lS3_PS4_PKS3_21rocsparse_index_base_.num_agpr, 0
	.set _ZN9rocsparseL23sddmm_ell_sample_kernelILi16ELi64E21rocsparse_complex_numIdElS2_EEvT2_S3_PKT3_lS3_PS4_PKS3_21rocsparse_index_base_.numbered_sgpr, 16
	.set _ZN9rocsparseL23sddmm_ell_sample_kernelILi16ELi64E21rocsparse_complex_numIdElS2_EEvT2_S3_PKT3_lS3_PS4_PKS3_21rocsparse_index_base_.num_named_barrier, 0
	.set _ZN9rocsparseL23sddmm_ell_sample_kernelILi16ELi64E21rocsparse_complex_numIdElS2_EEvT2_S3_PKT3_lS3_PS4_PKS3_21rocsparse_index_base_.private_seg_size, 0
	.set _ZN9rocsparseL23sddmm_ell_sample_kernelILi16ELi64E21rocsparse_complex_numIdElS2_EEvT2_S3_PKT3_lS3_PS4_PKS3_21rocsparse_index_base_.uses_vcc, 1
	.set _ZN9rocsparseL23sddmm_ell_sample_kernelILi16ELi64E21rocsparse_complex_numIdElS2_EEvT2_S3_PKT3_lS3_PS4_PKS3_21rocsparse_index_base_.uses_flat_scratch, 0
	.set _ZN9rocsparseL23sddmm_ell_sample_kernelILi16ELi64E21rocsparse_complex_numIdElS2_EEvT2_S3_PKT3_lS3_PS4_PKS3_21rocsparse_index_base_.has_dyn_sized_stack, 0
	.set _ZN9rocsparseL23sddmm_ell_sample_kernelILi16ELi64E21rocsparse_complex_numIdElS2_EEvT2_S3_PKT3_lS3_PS4_PKS3_21rocsparse_index_base_.has_recursion, 0
	.set _ZN9rocsparseL23sddmm_ell_sample_kernelILi16ELi64E21rocsparse_complex_numIdElS2_EEvT2_S3_PKT3_lS3_PS4_PKS3_21rocsparse_index_base_.has_indirect_call, 0
	.section	.AMDGPU.csdata,"",@progbits
; Kernel info:
; codeLenInByte = 400
; TotalNumSgprs: 18
; NumVgprs: 12
; ScratchSize: 0
; MemoryBound: 0
; FloatMode: 240
; IeeeMode: 1
; LDSByteSize: 0 bytes/workgroup (compile time only)
; SGPRBlocks: 0
; VGPRBlocks: 0
; NumSGPRsForWavesPerEU: 18
; NumVGPRsForWavesPerEU: 12
; NamedBarCnt: 0
; Occupancy: 16
; WaveLimiterHint : 0
; COMPUTE_PGM_RSRC2:SCRATCH_EN: 0
; COMPUTE_PGM_RSRC2:USER_SGPR: 2
; COMPUTE_PGM_RSRC2:TRAP_HANDLER: 0
; COMPUTE_PGM_RSRC2:TGID_X_EN: 1
; COMPUTE_PGM_RSRC2:TGID_Y_EN: 0
; COMPUTE_PGM_RSRC2:TGID_Z_EN: 0
; COMPUTE_PGM_RSRC2:TIDIG_COMP_CNT: 0
	.section	.text._ZN9rocsparseL16sddmm_ell_kernelILi512ELi8E21rocsparse_complex_numIdEllS2_S2_S2_EEv20rocsparse_operation_S3_16rocsparse_order_S4_T3_S5_S5_T2_NS_24const_host_device_scalarIT1_EEPKT4_lPKT5_lS9_PT6_PKS5_21rocsparse_index_base_b,"axG",@progbits,_ZN9rocsparseL16sddmm_ell_kernelILi512ELi8E21rocsparse_complex_numIdEllS2_S2_S2_EEv20rocsparse_operation_S3_16rocsparse_order_S4_T3_S5_S5_T2_NS_24const_host_device_scalarIT1_EEPKT4_lPKT5_lS9_PT6_PKS5_21rocsparse_index_base_b,comdat
	.globl	_ZN9rocsparseL16sddmm_ell_kernelILi512ELi8E21rocsparse_complex_numIdEllS2_S2_S2_EEv20rocsparse_operation_S3_16rocsparse_order_S4_T3_S5_S5_T2_NS_24const_host_device_scalarIT1_EEPKT4_lPKT5_lS9_PT6_PKS5_21rocsparse_index_base_b ; -- Begin function _ZN9rocsparseL16sddmm_ell_kernelILi512ELi8E21rocsparse_complex_numIdEllS2_S2_S2_EEv20rocsparse_operation_S3_16rocsparse_order_S4_T3_S5_S5_T2_NS_24const_host_device_scalarIT1_EEPKT4_lPKT5_lS9_PT6_PKS5_21rocsparse_index_base_b
	.p2align	8
	.type	_ZN9rocsparseL16sddmm_ell_kernelILi512ELi8E21rocsparse_complex_numIdEllS2_S2_S2_EEv20rocsparse_operation_S3_16rocsparse_order_S4_T3_S5_S5_T2_NS_24const_host_device_scalarIT1_EEPKT4_lPKT5_lS9_PT6_PKS5_21rocsparse_index_base_b,@function
_ZN9rocsparseL16sddmm_ell_kernelILi512ELi8E21rocsparse_complex_numIdEllS2_S2_S2_EEv20rocsparse_operation_S3_16rocsparse_order_S4_T3_S5_S5_T2_NS_24const_host_device_scalarIT1_EEPKT4_lPKT5_lS9_PT6_PKS5_21rocsparse_index_base_b: ; @_ZN9rocsparseL16sddmm_ell_kernelILi512ELi8E21rocsparse_complex_numIdEllS2_S2_S2_EEv20rocsparse_operation_S3_16rocsparse_order_S4_T3_S5_S5_T2_NS_24const_host_device_scalarIT1_EEPKT4_lPKT5_lS9_PT6_PKS5_21rocsparse_index_base_b
; %bb.0:
	s_clause 0x1
	s_load_b64 s[12:13], s[0:1], 0x80
	s_load_b64 s[2:3], s[0:1], 0x30
	v_mov_b32_e32 v1, 0
	s_add_nc_u64 s[4:5], s[0:1], 48
	s_load_b128 s[8:11], s[0:1], 0x58
	s_wait_kmcnt 0x0
	s_bitcmp1_b32 s13, 0
	s_cselect_b32 s3, s5, s3
	s_cselect_b32 s2, s4, s2
	flat_load_b128 v[2:5], v1, s[2:3]
	s_wait_xcnt 0x0
	s_add_nc_u64 s[2:3], s[0:1], 0x60
	s_delay_alu instid0(SALU_CYCLE_1)
	s_cselect_b32 s3, s3, s11
	s_cselect_b32 s2, s2, s10
	flat_load_b128 v[6:9], v1, s[2:3]
	s_wait_loadcnt_dscnt 0x101
	v_cmp_eq_f64_e32 vcc_lo, 0, v[2:3]
	s_wait_xcnt 0x0
	v_cmp_eq_f64_e64 s2, 0, v[4:5]
	s_and_b32 s4, vcc_lo, s2
	s_mov_b32 s2, -1
	s_and_saveexec_b32 s3, s4
	s_cbranch_execz .LBB56_2
; %bb.1:
	s_wait_loadcnt_dscnt 0x0
	v_cmp_neq_f64_e32 vcc_lo, 1.0, v[6:7]
	v_cmp_neq_f64_e64 s2, 0, v[8:9]
	s_or_b32 s2, vcc_lo, s2
	s_delay_alu instid0(SALU_CYCLE_1)
	s_or_not1_b32 s2, s2, exec_lo
.LBB56_2:
	s_or_b32 exec_lo, exec_lo, s3
	s_and_saveexec_b32 s3, s2
	s_cbranch_execz .LBB56_37
; %bb.3:
	s_load_b128 s[4:7], s[0:1], 0x20
	s_bfe_u32 s2, ttmp6, 0x4000c
	s_and_b32 s3, ttmp6, 15
	s_add_co_i32 s2, s2, 1
	s_getreg_b32 s10, hwreg(HW_REG_IB_STS2, 6, 4)
	s_mul_i32 s2, ttmp9, s2
	v_dual_mov_b32 v15, 0 :: v_dual_lshrrev_b32 v22, 3, v0
	s_add_co_i32 s3, s3, s2
	s_cmp_eq_u32 s10, 0
	s_cselect_b32 s2, ttmp9, s3
	s_delay_alu instid0(VALU_DEP_1) | instid1(SALU_CYCLE_1)
	v_lshl_or_b32 v14, s2, 6, v22
	s_wait_kmcnt 0x0
	s_delay_alu instid0(VALU_DEP_1)
	v_cmp_gt_i64_e32 vcc_lo, s[6:7], v[14:15]
	s_and_b32 exec_lo, exec_lo, vcc_lo
	s_cbranch_execz .LBB56_37
; %bb.4:
	s_load_b64 s[6:7], s[0:1], 0x10
                                        ; implicit-def: $vgpr12_vgpr13
	s_wait_kmcnt 0x0
	s_and_b64 s[2:3], s[6:7], 0xffffffff00000000
	s_delay_alu instid0(SALU_CYCLE_1) | instskip(SKIP_1) | instid1(SALU_CYCLE_1)
	s_cmp_lg_u64 s[2:3], 0
	s_cselect_b32 s2, -1, 0
	s_and_saveexec_b32 s3, s2
	s_delay_alu instid0(SALU_CYCLE_1)
	s_xor_b32 s3, exec_lo, s3
	s_cbranch_execz .LBB56_6
; %bb.5:
	s_ashr_i32 s10, s7, 31
	s_mov_b32 s21, 0
	s_mov_b32 s11, s10
	v_add_nc_u64_e32 v[10:11], 0, v[14:15]
	s_add_nc_u64 s[14:15], s[6:7], s[10:11]
	v_mov_b32_e32 v13, 0
	s_xor_b64 s[10:11], s[14:15], s[10:11]
	s_delay_alu instid0(SALU_CYCLE_1) | instskip(SKIP_3) | instid1(SALU_CYCLE_1)
	s_cvt_f32_u32 s2, s10
	s_cvt_f32_u32 s7, s11
	s_sub_nc_u64 s[16:17], 0, s[10:11]
	v_mov_b32_e32 v12, v10
	s_fmamk_f32 s2, s7, 0x4f800000, s2
	s_delay_alu instid0(SALU_CYCLE_3) | instskip(NEXT) | instid1(TRANS32_DEP_1)
	v_s_rcp_f32 s2, s2
	s_mul_f32 s2, s2, 0x5f7ffffc
	s_delay_alu instid0(SALU_CYCLE_3) | instskip(NEXT) | instid1(SALU_CYCLE_3)
	s_mul_f32 s7, s2, 0x2f800000
	s_trunc_f32 s7, s7
	s_delay_alu instid0(SALU_CYCLE_3) | instskip(SKIP_1) | instid1(SALU_CYCLE_2)
	s_fmamk_f32 s2, s7, 0xcf800000, s2
	s_cvt_u32_f32 s15, s7
	s_cvt_u32_f32 s14, s2
	s_delay_alu instid0(SALU_CYCLE_3) | instskip(NEXT) | instid1(SALU_CYCLE_1)
	s_mul_u64 s[18:19], s[16:17], s[14:15]
	s_mul_hi_u32 s23, s14, s19
	s_mul_i32 s22, s14, s19
	s_mul_hi_u32 s20, s14, s18
	s_mul_i32 s7, s15, s18
	s_add_nc_u64 s[22:23], s[20:21], s[22:23]
	s_mul_hi_u32 s2, s15, s18
	s_mul_hi_u32 s13, s15, s19
	s_add_co_u32 s7, s22, s7
	s_add_co_ci_u32 s20, s23, s2
	s_mul_i32 s18, s15, s19
	s_add_co_ci_u32 s19, s13, 0
	s_delay_alu instid0(SALU_CYCLE_1) | instskip(NEXT) | instid1(SALU_CYCLE_1)
	s_add_nc_u64 s[18:19], s[20:21], s[18:19]
	s_add_co_u32 s14, s14, s18
	s_cselect_b32 s2, -1, 0
	s_delay_alu instid0(SALU_CYCLE_1) | instskip(SKIP_1) | instid1(SALU_CYCLE_1)
	s_cmp_lg_u32 s2, 0
	s_add_co_ci_u32 s15, s15, s19
	s_mul_u64 s[16:17], s[16:17], s[14:15]
	s_delay_alu instid0(SALU_CYCLE_1)
	s_mul_hi_u32 s19, s14, s17
	s_mul_i32 s18, s14, s17
	s_mul_hi_u32 s20, s14, s16
	s_mul_i32 s7, s15, s16
	s_add_nc_u64 s[18:19], s[20:21], s[18:19]
	s_mul_hi_u32 s2, s15, s16
	s_mul_hi_u32 s13, s15, s17
	s_add_co_u32 s7, s18, s7
	s_add_co_ci_u32 s20, s19, s2
	s_mul_i32 s16, s15, s17
	s_add_co_ci_u32 s17, s13, 0
	s_delay_alu instid0(SALU_CYCLE_1) | instskip(NEXT) | instid1(SALU_CYCLE_1)
	s_add_nc_u64 s[16:17], s[20:21], s[16:17]
	s_add_co_u32 s2, s14, s16
	s_cselect_b32 s7, -1, 0
	s_delay_alu instid0(SALU_CYCLE_1)
	s_cmp_lg_u32 s7, 0
	s_add_co_ci_u32 s20, s15, s17
	s_mov_b64 s[14:15], 0xffffffff
	v_mul_u64_e32 v[16:17], s[20:21], v[12:13]
	v_mul_hi_u32 v12, v10, s2
	s_and_b64 s[14:15], s[2:3], s[14:15]
	s_delay_alu instid0(VALU_DEP_1) | instskip(SKIP_1) | instid1(VALU_DEP_1)
	v_add_nc_u64_e32 v[16:17], v[12:13], v[16:17]
	v_mov_b32_e32 v12, v11
	v_mul_u64_e32 v[18:19], s[14:15], v[12:13]
	v_mul_u64_e32 v[20:21], s[20:21], v[12:13]
	s_delay_alu instid0(VALU_DEP_2) | instskip(NEXT) | instid1(VALU_DEP_3)
	v_add_co_u32 v1, vcc_lo, v16, v18
	v_add_co_ci_u32_e32 v12, vcc_lo, v17, v19, vcc_lo
	s_delay_alu instid0(VALU_DEP_3) | instskip(NEXT) | instid1(VALU_DEP_1)
	v_add_co_ci_u32_e32 v21, vcc_lo, 0, v21, vcc_lo
	v_add_nc_u64_e32 v[12:13], v[12:13], v[20:21]
	s_delay_alu instid0(VALU_DEP_1) | instskip(NEXT) | instid1(VALU_DEP_1)
	v_mul_u64_e32 v[12:13], s[10:11], v[12:13]
	v_sub_nc_u32_e32 v1, v11, v13
	s_delay_alu instid0(VALU_DEP_2) | instskip(NEXT) | instid1(VALU_DEP_1)
	v_sub_co_u32 v10, vcc_lo, v10, v12
	v_sub_co_ci_u32_e64 v11, null, v11, v13, vcc_lo
	s_delay_alu instid0(VALU_DEP_3) | instskip(NEXT) | instid1(VALU_DEP_3)
	v_subrev_co_ci_u32_e64 v1, null, s11, v1, vcc_lo
	v_sub_co_u32 v12, vcc_lo, v10, s10
	v_cmp_le_u32_e64 s2, s10, v10
	s_delay_alu instid0(VALU_DEP_3) | instskip(SKIP_1) | instid1(VALU_DEP_3)
	v_subrev_co_ci_u32_e64 v13, null, 0, v1, vcc_lo
	v_subrev_co_ci_u32_e64 v1, null, s11, v1, vcc_lo
	v_cndmask_b32_e64 v16, 0, -1, s2
	v_cmp_le_u32_e64 s2, s10, v12
	v_cmp_le_u32_e32 vcc_lo, s11, v11
	s_delay_alu instid0(VALU_DEP_2) | instskip(SKIP_3) | instid1(VALU_DEP_3)
	v_cndmask_b32_e64 v17, 0, -1, s2
	v_cmp_le_u32_e64 s2, s11, v13
	v_cndmask_b32_e64 v19, 0, -1, vcc_lo
	v_cmp_eq_u32_e32 vcc_lo, s11, v13
	v_cndmask_b32_e64 v18, 0, -1, s2
	v_cmp_eq_u32_e64 s2, s11, v11
	s_delay_alu instid0(VALU_DEP_1) | instskip(SKIP_1) | instid1(VALU_DEP_1)
	v_dual_cndmask_b32 v17, v18, v17, vcc_lo :: v_dual_cndmask_b32 v16, v19, v16, s2
	v_sub_co_u32 v18, vcc_lo, v12, s10
	v_subrev_co_ci_u32_e64 v1, null, 0, v1, vcc_lo
	s_delay_alu instid0(VALU_DEP_3) | instskip(NEXT) | instid1(VALU_DEP_2)
	v_cmp_ne_u32_e32 vcc_lo, 0, v17
	v_dual_cndmask_b32 v1, v13, v1 :: v_dual_cndmask_b32 v12, v12, v18
	v_cmp_ne_u32_e32 vcc_lo, 0, v16
	s_delay_alu instid0(VALU_DEP_2) | instskip(NEXT) | instid1(VALU_DEP_1)
	v_dual_cndmask_b32 v11, v11, v1 :: v_dual_cndmask_b32 v10, v10, v12
	v_sub_nc_u64_e64 v[12:13], v[10:11], 0
.LBB56_6:
	s_or_saveexec_b32 s7, s3
	s_load_b64 s[2:3], s[0:1], 0x78
	s_xor_b32 exec_lo, exec_lo, s7
	s_cbranch_execz .LBB56_8
; %bb.7:
	v_cvt_f32_u32_e32 v1, s6
	s_sub_co_i32 s10, 0, s6
	v_mov_b32_e32 v13, 0
	s_delay_alu instid0(VALU_DEP_2) | instskip(SKIP_1) | instid1(TRANS32_DEP_1)
	v_rcp_iflag_f32_e32 v1, v1
	v_nop
	v_mul_f32_e32 v1, 0x4f7ffffe, v1
	s_delay_alu instid0(VALU_DEP_1) | instskip(NEXT) | instid1(VALU_DEP_1)
	v_cvt_u32_f32_e32 v1, v1
	v_mul_lo_u32 v10, s10, v1
	s_delay_alu instid0(VALU_DEP_1) | instskip(NEXT) | instid1(VALU_DEP_1)
	v_mul_hi_u32 v10, v1, v10
	v_add_nc_u32_e32 v1, v1, v10
	s_delay_alu instid0(VALU_DEP_1) | instskip(NEXT) | instid1(VALU_DEP_1)
	v_mul_hi_u32 v1, v14, v1
	v_mul_lo_u32 v1, v1, s6
	s_delay_alu instid0(VALU_DEP_1) | instskip(NEXT) | instid1(VALU_DEP_1)
	v_sub_nc_u32_e32 v1, v14, v1
	v_subrev_nc_u32_e32 v10, s6, v1
	v_cmp_le_u32_e32 vcc_lo, s6, v1
	s_delay_alu instid0(VALU_DEP_2) | instskip(NEXT) | instid1(VALU_DEP_1)
	v_cndmask_b32_e32 v1, v1, v10, vcc_lo
	v_subrev_nc_u32_e32 v10, s6, v1
	v_cmp_le_u32_e32 vcc_lo, s6, v1
	s_delay_alu instid0(VALU_DEP_2)
	v_cndmask_b32_e32 v12, v1, v10, vcc_lo
.LBB56_8:
	s_or_b32 exec_lo, exec_lo, s7
	s_wait_kmcnt 0x0
	v_lshl_add_u64 v[10:11], v[14:15], 3, s[2:3]
	s_mov_b32 s13, 0
	global_load_b64 v[10:11], v[10:11], off
	s_wait_loadcnt 0x0
	v_sub_nc_u64_e64 v[10:11], v[10:11], s[12:13]
	s_delay_alu instid0(VALU_DEP_1)
	v_cmp_lt_i64_e32 vcc_lo, -1, v[10:11]
	s_and_b32 exec_lo, exec_lo, vcc_lo
	s_cbranch_execz .LBB56_37
; %bb.9:
	s_clause 0x1
	s_load_b128 s[12:15], s[0:1], 0x0
	s_load_b64 s[2:3], s[0:1], 0x48
	s_wait_kmcnt 0x0
	s_cmp_eq_u32 s14, 1
	s_cselect_b32 s6, -1, 0
	s_cmp_eq_u32 s12, 0x6f
	s_cselect_b32 s7, -1, 0
	s_cmp_lg_u32 s12, 0x6f
	s_cselect_b32 s10, -1, 0
	s_cmp_lg_u32 s14, 1
	s_cbranch_scc0 .LBB56_13
; %bb.10:
	v_mov_b64_e32 v[16:17], v[12:13]
	s_and_not1_b32 vcc_lo, exec_lo, s7
	s_cbranch_vccnz .LBB56_12
; %bb.11:
	v_mul_u64_e32 v[16:17], s[2:3], v[12:13]
.LBB56_12:
	s_cbranch_execz .LBB56_14
	s_branch .LBB56_17
.LBB56_13:
                                        ; implicit-def: $vgpr16_vgpr17
.LBB56_14:
	s_and_not1_b32 vcc_lo, exec_lo, s10
	s_cbranch_vccnz .LBB56_16
; %bb.15:
	v_mul_u64_e32 v[12:13], s[2:3], v[12:13]
.LBB56_16:
	s_delay_alu instid0(VALU_DEP_1)
	v_mov_b64_e32 v[16:17], v[12:13]
.LBB56_17:
	s_cmp_eq_u32 s15, 1
	s_cselect_b32 s11, -1, 0
	s_cmp_eq_u32 s13, 0x6f
	s_cselect_b32 s12, -1, 0
	s_cmp_lg_u32 s13, 0x6f
	s_cselect_b32 s10, -1, 0
	s_cmp_lg_u32 s15, 1
	s_cbranch_scc0 .LBB56_21
; %bb.18:
	v_mov_b64_e32 v[18:19], v[10:11]
	s_and_not1_b32 vcc_lo, exec_lo, s10
	s_cbranch_vccnz .LBB56_20
; %bb.19:
	v_mul_u64_e32 v[18:19], s[8:9], v[10:11]
.LBB56_20:
	s_cbranch_execz .LBB56_22
	s_branch .LBB56_25
.LBB56_21:
                                        ; implicit-def: $vgpr18_vgpr19
.LBB56_22:
	s_and_not1_b32 vcc_lo, exec_lo, s12
	s_cbranch_vccnz .LBB56_24
; %bb.23:
	v_mul_u64_e32 v[10:11], s[8:9], v[10:11]
.LBB56_24:
	s_delay_alu instid0(VALU_DEP_1)
	v_mov_b64_e32 v[18:19], v[10:11]
.LBB56_25:
	v_mov_b64_e32 v[12:13], 0
	v_mov_b64_e32 v[10:11], 0
	v_dual_mov_b32 v1, 0 :: v_dual_bitop2_b32 v0, 7, v0 bitop3:0x40
	s_mov_b32 s10, exec_lo
	s_delay_alu instid0(VALU_DEP_1)
	v_cmpx_gt_i64_e64 s[4:5], v[0:1]
	s_cbranch_execz .LBB56_29
; %bb.26:
	s_xor_b32 s6, s7, s6
	v_lshlrev_b64_e32 v[16:17], 4, v[16:17]
	s_and_b32 s6, s6, exec_lo
	s_cselect_b32 s3, 0, s3
	s_cselect_b32 s2, 1, s2
	s_xor_b32 s6, s12, s11
	v_mul_u64_e32 v[10:11], s[2:3], v[0:1]
	s_and_b32 s6, s6, exec_lo
	s_cselect_b32 s7, s9, 0
	s_cselect_b32 s6, s8, 1
	s_clause 0x1
	s_load_b64 s[8:9], s[0:1], 0x40
	s_load_b64 s[12:13], s[0:1], 0x50
	v_mul_u64_e32 v[12:13], s[6:7], v[0:1]
	v_lshlrev_b64_e32 v[18:19], 4, v[18:19]
	v_mov_b64_e32 v[20:21], v[0:1]
	s_lshl_b64 s[2:3], s[2:3], 7
	s_lshl_b64 s[6:7], s[6:7], 7
	s_delay_alu instid0(VALU_DEP_4) | instskip(NEXT) | instid1(VALU_DEP_3)
	v_lshl_add_u64 v[10:11], v[10:11], 4, v[16:17]
	v_lshl_add_u64 v[12:13], v[12:13], 4, v[18:19]
	s_wait_kmcnt 0x0
	s_delay_alu instid0(VALU_DEP_2) | instskip(SKIP_1) | instid1(VALU_DEP_2)
	v_add_nc_u64_e32 v[10:11], s[8:9], v[10:11]
	s_mov_b32 s8, 0
	v_add_nc_u64_e32 v[18:19], s[12:13], v[12:13]
	v_mov_b64_e32 v[12:13], 0
	s_delay_alu instid0(VALU_DEP_3) | instskip(NEXT) | instid1(VALU_DEP_3)
	v_add_nc_u64_e32 v[16:17], 8, v[10:11]
	v_add_nc_u64_e32 v[18:19], 8, v[18:19]
	s_delay_alu instid0(VALU_DEP_3)
	v_mov_b64_e32 v[10:11], v[12:13]
.LBB56_27:                              ; =>This Inner Loop Header: Depth=1
	global_load_b128 v[24:27], v[18:19], off offset:-8
	global_load_b128 v[28:31], v[16:17], off offset:-8
	v_add_nc_u64_e32 v[20:21], 8, v[20:21]
	s_wait_xcnt 0x0
	v_add_nc_u64_e32 v[16:17], s[2:3], v[16:17]
	v_add_nc_u64_e32 v[18:19], s[6:7], v[18:19]
	s_delay_alu instid0(VALU_DEP_3) | instskip(SKIP_4) | instid1(VALU_DEP_2)
	v_cmp_le_i64_e32 vcc_lo, s[4:5], v[20:21]
	s_or_b32 s8, vcc_lo, s8
	s_wait_loadcnt 0x0
	v_mul_f64_e64 v[32:33], v[26:27], -v[30:31]
	v_mul_f64_e32 v[26:27], v[26:27], v[28:29]
	v_fmac_f64_e32 v[32:33], v[28:29], v[24:25]
	s_delay_alu instid0(VALU_DEP_2) | instskip(NEXT) | instid1(VALU_DEP_2)
	v_fmac_f64_e32 v[26:27], v[30:31], v[24:25]
	v_add_f64_e32 v[10:11], v[10:11], v[32:33]
	s_delay_alu instid0(VALU_DEP_2)
	v_add_f64_e32 v[12:13], v[12:13], v[26:27]
	s_and_not1_b32 exec_lo, exec_lo, s8
	s_cbranch_execnz .LBB56_27
; %bb.28:
	s_or_b32 exec_lo, exec_lo, s8
.LBB56_29:
	s_delay_alu instid0(SALU_CYCLE_1) | instskip(SKIP_3) | instid1(VALU_DEP_1)
	s_or_b32 exec_lo, exec_lo, s10
	s_load_b64 s[0:1], s[0:1], 0x70
	v_lshlrev_b32_e32 v1, 7, v22
	s_mov_b32 s2, exec_lo
	v_lshl_or_b32 v16, v0, 4, v1
	ds_store_b128 v16, v[10:13]
	s_wait_dscnt 0x0
	s_barrier_signal -1
	s_barrier_wait -1
	v_cmpx_gt_u32_e32 4, v0
	s_cbranch_execz .LBB56_31
; %bb.30:
	ds_load_b128 v[10:13], v16 offset:64
	ds_load_b128 v[18:21], v16
	s_wait_dscnt 0x0
	v_add_f64_e32 v[10:11], v[10:11], v[18:19]
	v_add_f64_e32 v[12:13], v[12:13], v[20:21]
	ds_store_b128 v16, v[10:13]
.LBB56_31:
	s_or_b32 exec_lo, exec_lo, s2
	s_delay_alu instid0(SALU_CYCLE_1)
	s_mov_b32 s2, exec_lo
	s_wait_dscnt 0x0
	s_barrier_signal -1
	s_barrier_wait -1
	v_cmpx_gt_u32_e32 2, v0
	s_cbranch_execz .LBB56_33
; %bb.32:
	ds_load_b128 v[10:13], v16
	ds_load_b128 v[18:21], v16 offset:32
	s_wait_dscnt 0x0
	v_add_f64_e32 v[10:11], v[18:19], v[10:11]
	v_add_f64_e32 v[12:13], v[20:21], v[12:13]
	ds_store_b128 v16, v[10:13]
.LBB56_33:
	s_or_b32 exec_lo, exec_lo, s2
	v_cmp_eq_u32_e32 vcc_lo, 0, v0
	s_wait_dscnt 0x0
	s_barrier_signal -1
	s_barrier_wait -1
	s_and_saveexec_b32 s2, vcc_lo
	s_cbranch_execz .LBB56_35
; %bb.34:
	ds_load_b128 v[10:13], v16
	ds_load_b128 v[18:21], v16 offset:16
	s_wait_dscnt 0x0
	v_add_f64_e32 v[10:11], v[18:19], v[10:11]
	v_add_f64_e32 v[12:13], v[20:21], v[12:13]
	ds_store_b128 v16, v[10:13]
.LBB56_35:
	s_or_b32 exec_lo, exec_lo, s2
	s_wait_dscnt 0x0
	s_barrier_signal -1
	s_barrier_wait -1
	s_and_b32 exec_lo, exec_lo, vcc_lo
	s_cbranch_execz .LBB56_37
; %bb.36:
	s_wait_kmcnt 0x0
	v_lshl_add_u64 v[18:19], v[14:15], 4, s[0:1]
	ds_load_b128 v[14:17], v1
	global_load_b128 v[10:13], v[18:19], off
	s_wait_dscnt 0x0
	v_mul_f64_e64 v[0:1], v[16:17], -v[4:5]
	v_mul_f64_e32 v[16:17], v[2:3], v[16:17]
	s_delay_alu instid0(VALU_DEP_2) | instskip(NEXT) | instid1(VALU_DEP_2)
	v_fmac_f64_e32 v[0:1], v[2:3], v[14:15]
	v_fmac_f64_e32 v[16:17], v[4:5], v[14:15]
	s_wait_loadcnt 0x0
	v_mul_f64_e64 v[20:21], v[8:9], -v[12:13]
	v_mul_f64_e32 v[8:9], v[8:9], v[10:11]
	s_delay_alu instid0(VALU_DEP_2) | instskip(NEXT) | instid1(VALU_DEP_2)
	v_fmac_f64_e32 v[20:21], v[10:11], v[6:7]
	v_fmac_f64_e32 v[8:9], v[12:13], v[6:7]
	s_delay_alu instid0(VALU_DEP_2) | instskip(NEXT) | instid1(VALU_DEP_2)
	v_add_f64_e32 v[0:1], v[20:21], v[0:1]
	v_add_f64_e32 v[2:3], v[8:9], v[16:17]
	global_store_b128 v[18:19], v[0:3], off
.LBB56_37:
	s_endpgm
	.section	.rodata,"a",@progbits
	.p2align	6, 0x0
	.amdhsa_kernel _ZN9rocsparseL16sddmm_ell_kernelILi512ELi8E21rocsparse_complex_numIdEllS2_S2_S2_EEv20rocsparse_operation_S3_16rocsparse_order_S4_T3_S5_S5_T2_NS_24const_host_device_scalarIT1_EEPKT4_lPKT5_lS9_PT6_PKS5_21rocsparse_index_base_b
		.amdhsa_group_segment_fixed_size 8192
		.amdhsa_private_segment_fixed_size 0
		.amdhsa_kernarg_size 136
		.amdhsa_user_sgpr_count 2
		.amdhsa_user_sgpr_dispatch_ptr 0
		.amdhsa_user_sgpr_queue_ptr 0
		.amdhsa_user_sgpr_kernarg_segment_ptr 1
		.amdhsa_user_sgpr_dispatch_id 0
		.amdhsa_user_sgpr_kernarg_preload_length 0
		.amdhsa_user_sgpr_kernarg_preload_offset 0
		.amdhsa_user_sgpr_private_segment_size 0
		.amdhsa_wavefront_size32 1
		.amdhsa_uses_dynamic_stack 0
		.amdhsa_enable_private_segment 0
		.amdhsa_system_sgpr_workgroup_id_x 1
		.amdhsa_system_sgpr_workgroup_id_y 0
		.amdhsa_system_sgpr_workgroup_id_z 0
		.amdhsa_system_sgpr_workgroup_info 0
		.amdhsa_system_vgpr_workitem_id 0
		.amdhsa_next_free_vgpr 34
		.amdhsa_next_free_sgpr 24
		.amdhsa_named_barrier_count 0
		.amdhsa_reserve_vcc 1
		.amdhsa_float_round_mode_32 0
		.amdhsa_float_round_mode_16_64 0
		.amdhsa_float_denorm_mode_32 3
		.amdhsa_float_denorm_mode_16_64 3
		.amdhsa_fp16_overflow 0
		.amdhsa_memory_ordered 1
		.amdhsa_forward_progress 1
		.amdhsa_inst_pref_size 16
		.amdhsa_round_robin_scheduling 0
		.amdhsa_exception_fp_ieee_invalid_op 0
		.amdhsa_exception_fp_denorm_src 0
		.amdhsa_exception_fp_ieee_div_zero 0
		.amdhsa_exception_fp_ieee_overflow 0
		.amdhsa_exception_fp_ieee_underflow 0
		.amdhsa_exception_fp_ieee_inexact 0
		.amdhsa_exception_int_div_zero 0
	.end_amdhsa_kernel
	.section	.text._ZN9rocsparseL16sddmm_ell_kernelILi512ELi8E21rocsparse_complex_numIdEllS2_S2_S2_EEv20rocsparse_operation_S3_16rocsparse_order_S4_T3_S5_S5_T2_NS_24const_host_device_scalarIT1_EEPKT4_lPKT5_lS9_PT6_PKS5_21rocsparse_index_base_b,"axG",@progbits,_ZN9rocsparseL16sddmm_ell_kernelILi512ELi8E21rocsparse_complex_numIdEllS2_S2_S2_EEv20rocsparse_operation_S3_16rocsparse_order_S4_T3_S5_S5_T2_NS_24const_host_device_scalarIT1_EEPKT4_lPKT5_lS9_PT6_PKS5_21rocsparse_index_base_b,comdat
.Lfunc_end56:
	.size	_ZN9rocsparseL16sddmm_ell_kernelILi512ELi8E21rocsparse_complex_numIdEllS2_S2_S2_EEv20rocsparse_operation_S3_16rocsparse_order_S4_T3_S5_S5_T2_NS_24const_host_device_scalarIT1_EEPKT4_lPKT5_lS9_PT6_PKS5_21rocsparse_index_base_b, .Lfunc_end56-_ZN9rocsparseL16sddmm_ell_kernelILi512ELi8E21rocsparse_complex_numIdEllS2_S2_S2_EEv20rocsparse_operation_S3_16rocsparse_order_S4_T3_S5_S5_T2_NS_24const_host_device_scalarIT1_EEPKT4_lPKT5_lS9_PT6_PKS5_21rocsparse_index_base_b
                                        ; -- End function
	.set _ZN9rocsparseL16sddmm_ell_kernelILi512ELi8E21rocsparse_complex_numIdEllS2_S2_S2_EEv20rocsparse_operation_S3_16rocsparse_order_S4_T3_S5_S5_T2_NS_24const_host_device_scalarIT1_EEPKT4_lPKT5_lS9_PT6_PKS5_21rocsparse_index_base_b.num_vgpr, 34
	.set _ZN9rocsparseL16sddmm_ell_kernelILi512ELi8E21rocsparse_complex_numIdEllS2_S2_S2_EEv20rocsparse_operation_S3_16rocsparse_order_S4_T3_S5_S5_T2_NS_24const_host_device_scalarIT1_EEPKT4_lPKT5_lS9_PT6_PKS5_21rocsparse_index_base_b.num_agpr, 0
	.set _ZN9rocsparseL16sddmm_ell_kernelILi512ELi8E21rocsparse_complex_numIdEllS2_S2_S2_EEv20rocsparse_operation_S3_16rocsparse_order_S4_T3_S5_S5_T2_NS_24const_host_device_scalarIT1_EEPKT4_lPKT5_lS9_PT6_PKS5_21rocsparse_index_base_b.numbered_sgpr, 24
	.set _ZN9rocsparseL16sddmm_ell_kernelILi512ELi8E21rocsparse_complex_numIdEllS2_S2_S2_EEv20rocsparse_operation_S3_16rocsparse_order_S4_T3_S5_S5_T2_NS_24const_host_device_scalarIT1_EEPKT4_lPKT5_lS9_PT6_PKS5_21rocsparse_index_base_b.num_named_barrier, 0
	.set _ZN9rocsparseL16sddmm_ell_kernelILi512ELi8E21rocsparse_complex_numIdEllS2_S2_S2_EEv20rocsparse_operation_S3_16rocsparse_order_S4_T3_S5_S5_T2_NS_24const_host_device_scalarIT1_EEPKT4_lPKT5_lS9_PT6_PKS5_21rocsparse_index_base_b.private_seg_size, 0
	.set _ZN9rocsparseL16sddmm_ell_kernelILi512ELi8E21rocsparse_complex_numIdEllS2_S2_S2_EEv20rocsparse_operation_S3_16rocsparse_order_S4_T3_S5_S5_T2_NS_24const_host_device_scalarIT1_EEPKT4_lPKT5_lS9_PT6_PKS5_21rocsparse_index_base_b.uses_vcc, 1
	.set _ZN9rocsparseL16sddmm_ell_kernelILi512ELi8E21rocsparse_complex_numIdEllS2_S2_S2_EEv20rocsparse_operation_S3_16rocsparse_order_S4_T3_S5_S5_T2_NS_24const_host_device_scalarIT1_EEPKT4_lPKT5_lS9_PT6_PKS5_21rocsparse_index_base_b.uses_flat_scratch, 0
	.set _ZN9rocsparseL16sddmm_ell_kernelILi512ELi8E21rocsparse_complex_numIdEllS2_S2_S2_EEv20rocsparse_operation_S3_16rocsparse_order_S4_T3_S5_S5_T2_NS_24const_host_device_scalarIT1_EEPKT4_lPKT5_lS9_PT6_PKS5_21rocsparse_index_base_b.has_dyn_sized_stack, 0
	.set _ZN9rocsparseL16sddmm_ell_kernelILi512ELi8E21rocsparse_complex_numIdEllS2_S2_S2_EEv20rocsparse_operation_S3_16rocsparse_order_S4_T3_S5_S5_T2_NS_24const_host_device_scalarIT1_EEPKT4_lPKT5_lS9_PT6_PKS5_21rocsparse_index_base_b.has_recursion, 0
	.set _ZN9rocsparseL16sddmm_ell_kernelILi512ELi8E21rocsparse_complex_numIdEllS2_S2_S2_EEv20rocsparse_operation_S3_16rocsparse_order_S4_T3_S5_S5_T2_NS_24const_host_device_scalarIT1_EEPKT4_lPKT5_lS9_PT6_PKS5_21rocsparse_index_base_b.has_indirect_call, 0
	.section	.AMDGPU.csdata,"",@progbits
; Kernel info:
; codeLenInByte = 1928
; TotalNumSgprs: 26
; NumVgprs: 34
; ScratchSize: 0
; MemoryBound: 0
; FloatMode: 240
; IeeeMode: 1
; LDSByteSize: 8192 bytes/workgroup (compile time only)
; SGPRBlocks: 0
; VGPRBlocks: 2
; NumSGPRsForWavesPerEU: 26
; NumVGPRsForWavesPerEU: 34
; NamedBarCnt: 0
; Occupancy: 16
; WaveLimiterHint : 1
; COMPUTE_PGM_RSRC2:SCRATCH_EN: 0
; COMPUTE_PGM_RSRC2:USER_SGPR: 2
; COMPUTE_PGM_RSRC2:TRAP_HANDLER: 0
; COMPUTE_PGM_RSRC2:TGID_X_EN: 1
; COMPUTE_PGM_RSRC2:TGID_Y_EN: 0
; COMPUTE_PGM_RSRC2:TGID_Z_EN: 0
; COMPUTE_PGM_RSRC2:TIDIG_COMP_CNT: 0
	.section	.text._ZN9rocsparseL16sddmm_ell_kernelILi512ELi4E21rocsparse_complex_numIdEllS2_S2_S2_EEv20rocsparse_operation_S3_16rocsparse_order_S4_T3_S5_S5_T2_NS_24const_host_device_scalarIT1_EEPKT4_lPKT5_lS9_PT6_PKS5_21rocsparse_index_base_b,"axG",@progbits,_ZN9rocsparseL16sddmm_ell_kernelILi512ELi4E21rocsparse_complex_numIdEllS2_S2_S2_EEv20rocsparse_operation_S3_16rocsparse_order_S4_T3_S5_S5_T2_NS_24const_host_device_scalarIT1_EEPKT4_lPKT5_lS9_PT6_PKS5_21rocsparse_index_base_b,comdat
	.globl	_ZN9rocsparseL16sddmm_ell_kernelILi512ELi4E21rocsparse_complex_numIdEllS2_S2_S2_EEv20rocsparse_operation_S3_16rocsparse_order_S4_T3_S5_S5_T2_NS_24const_host_device_scalarIT1_EEPKT4_lPKT5_lS9_PT6_PKS5_21rocsparse_index_base_b ; -- Begin function _ZN9rocsparseL16sddmm_ell_kernelILi512ELi4E21rocsparse_complex_numIdEllS2_S2_S2_EEv20rocsparse_operation_S3_16rocsparse_order_S4_T3_S5_S5_T2_NS_24const_host_device_scalarIT1_EEPKT4_lPKT5_lS9_PT6_PKS5_21rocsparse_index_base_b
	.p2align	8
	.type	_ZN9rocsparseL16sddmm_ell_kernelILi512ELi4E21rocsparse_complex_numIdEllS2_S2_S2_EEv20rocsparse_operation_S3_16rocsparse_order_S4_T3_S5_S5_T2_NS_24const_host_device_scalarIT1_EEPKT4_lPKT5_lS9_PT6_PKS5_21rocsparse_index_base_b,@function
_ZN9rocsparseL16sddmm_ell_kernelILi512ELi4E21rocsparse_complex_numIdEllS2_S2_S2_EEv20rocsparse_operation_S3_16rocsparse_order_S4_T3_S5_S5_T2_NS_24const_host_device_scalarIT1_EEPKT4_lPKT5_lS9_PT6_PKS5_21rocsparse_index_base_b: ; @_ZN9rocsparseL16sddmm_ell_kernelILi512ELi4E21rocsparse_complex_numIdEllS2_S2_S2_EEv20rocsparse_operation_S3_16rocsparse_order_S4_T3_S5_S5_T2_NS_24const_host_device_scalarIT1_EEPKT4_lPKT5_lS9_PT6_PKS5_21rocsparse_index_base_b
; %bb.0:
	s_clause 0x1
	s_load_b64 s[12:13], s[0:1], 0x80
	s_load_b64 s[2:3], s[0:1], 0x30
	v_mov_b32_e32 v1, 0
	s_add_nc_u64 s[4:5], s[0:1], 48
	s_load_b128 s[8:11], s[0:1], 0x58
	s_wait_kmcnt 0x0
	s_bitcmp1_b32 s13, 0
	s_cselect_b32 s3, s5, s3
	s_cselect_b32 s2, s4, s2
	flat_load_b128 v[2:5], v1, s[2:3]
	s_wait_xcnt 0x0
	s_add_nc_u64 s[2:3], s[0:1], 0x60
	s_delay_alu instid0(SALU_CYCLE_1)
	s_cselect_b32 s3, s3, s11
	s_cselect_b32 s2, s2, s10
	flat_load_b128 v[6:9], v1, s[2:3]
	s_wait_loadcnt_dscnt 0x101
	v_cmp_eq_f64_e32 vcc_lo, 0, v[2:3]
	s_wait_xcnt 0x0
	v_cmp_eq_f64_e64 s2, 0, v[4:5]
	s_and_b32 s4, vcc_lo, s2
	s_mov_b32 s2, -1
	s_and_saveexec_b32 s3, s4
	s_cbranch_execz .LBB57_2
; %bb.1:
	s_wait_loadcnt_dscnt 0x0
	v_cmp_neq_f64_e32 vcc_lo, 1.0, v[6:7]
	v_cmp_neq_f64_e64 s2, 0, v[8:9]
	s_or_b32 s2, vcc_lo, s2
	s_delay_alu instid0(SALU_CYCLE_1)
	s_or_not1_b32 s2, s2, exec_lo
.LBB57_2:
	s_or_b32 exec_lo, exec_lo, s3
	s_and_saveexec_b32 s3, s2
	s_cbranch_execz .LBB57_35
; %bb.3:
	s_load_b128 s[4:7], s[0:1], 0x20
	s_bfe_u32 s2, ttmp6, 0x4000c
	s_and_b32 s3, ttmp6, 15
	s_add_co_i32 s2, s2, 1
	s_getreg_b32 s10, hwreg(HW_REG_IB_STS2, 6, 4)
	s_mul_i32 s2, ttmp9, s2
	v_dual_mov_b32 v15, 0 :: v_dual_lshrrev_b32 v22, 2, v0
	s_add_co_i32 s3, s3, s2
	s_cmp_eq_u32 s10, 0
	s_cselect_b32 s2, ttmp9, s3
	s_delay_alu instid0(VALU_DEP_1) | instid1(SALU_CYCLE_1)
	v_lshl_or_b32 v14, s2, 7, v22
	s_wait_kmcnt 0x0
	s_delay_alu instid0(VALU_DEP_1)
	v_cmp_gt_i64_e32 vcc_lo, s[6:7], v[14:15]
	s_and_b32 exec_lo, exec_lo, vcc_lo
	s_cbranch_execz .LBB57_35
; %bb.4:
	s_load_b64 s[6:7], s[0:1], 0x10
                                        ; implicit-def: $vgpr12_vgpr13
	s_wait_kmcnt 0x0
	s_and_b64 s[2:3], s[6:7], 0xffffffff00000000
	s_delay_alu instid0(SALU_CYCLE_1) | instskip(SKIP_1) | instid1(SALU_CYCLE_1)
	s_cmp_lg_u64 s[2:3], 0
	s_cselect_b32 s2, -1, 0
	s_and_saveexec_b32 s3, s2
	s_delay_alu instid0(SALU_CYCLE_1)
	s_xor_b32 s3, exec_lo, s3
	s_cbranch_execz .LBB57_6
; %bb.5:
	s_ashr_i32 s10, s7, 31
	s_mov_b32 s21, 0
	s_mov_b32 s11, s10
	v_add_nc_u64_e32 v[10:11], 0, v[14:15]
	s_add_nc_u64 s[14:15], s[6:7], s[10:11]
	v_mov_b32_e32 v13, 0
	s_xor_b64 s[10:11], s[14:15], s[10:11]
	s_delay_alu instid0(SALU_CYCLE_1) | instskip(SKIP_3) | instid1(SALU_CYCLE_1)
	s_cvt_f32_u32 s2, s10
	s_cvt_f32_u32 s7, s11
	s_sub_nc_u64 s[16:17], 0, s[10:11]
	v_mov_b32_e32 v12, v10
	s_fmamk_f32 s2, s7, 0x4f800000, s2
	s_delay_alu instid0(SALU_CYCLE_3) | instskip(NEXT) | instid1(TRANS32_DEP_1)
	v_s_rcp_f32 s2, s2
	s_mul_f32 s2, s2, 0x5f7ffffc
	s_delay_alu instid0(SALU_CYCLE_3) | instskip(NEXT) | instid1(SALU_CYCLE_3)
	s_mul_f32 s7, s2, 0x2f800000
	s_trunc_f32 s7, s7
	s_delay_alu instid0(SALU_CYCLE_3) | instskip(SKIP_1) | instid1(SALU_CYCLE_2)
	s_fmamk_f32 s2, s7, 0xcf800000, s2
	s_cvt_u32_f32 s15, s7
	s_cvt_u32_f32 s14, s2
	s_delay_alu instid0(SALU_CYCLE_3) | instskip(NEXT) | instid1(SALU_CYCLE_1)
	s_mul_u64 s[18:19], s[16:17], s[14:15]
	s_mul_hi_u32 s23, s14, s19
	s_mul_i32 s22, s14, s19
	s_mul_hi_u32 s20, s14, s18
	s_mul_i32 s7, s15, s18
	s_add_nc_u64 s[22:23], s[20:21], s[22:23]
	s_mul_hi_u32 s2, s15, s18
	s_mul_hi_u32 s13, s15, s19
	s_add_co_u32 s7, s22, s7
	s_add_co_ci_u32 s20, s23, s2
	s_mul_i32 s18, s15, s19
	s_add_co_ci_u32 s19, s13, 0
	s_delay_alu instid0(SALU_CYCLE_1) | instskip(NEXT) | instid1(SALU_CYCLE_1)
	s_add_nc_u64 s[18:19], s[20:21], s[18:19]
	s_add_co_u32 s14, s14, s18
	s_cselect_b32 s2, -1, 0
	s_delay_alu instid0(SALU_CYCLE_1) | instskip(SKIP_1) | instid1(SALU_CYCLE_1)
	s_cmp_lg_u32 s2, 0
	s_add_co_ci_u32 s15, s15, s19
	s_mul_u64 s[16:17], s[16:17], s[14:15]
	s_delay_alu instid0(SALU_CYCLE_1)
	s_mul_hi_u32 s19, s14, s17
	s_mul_i32 s18, s14, s17
	s_mul_hi_u32 s20, s14, s16
	s_mul_i32 s7, s15, s16
	s_add_nc_u64 s[18:19], s[20:21], s[18:19]
	s_mul_hi_u32 s2, s15, s16
	s_mul_hi_u32 s13, s15, s17
	s_add_co_u32 s7, s18, s7
	s_add_co_ci_u32 s20, s19, s2
	s_mul_i32 s16, s15, s17
	s_add_co_ci_u32 s17, s13, 0
	s_delay_alu instid0(SALU_CYCLE_1) | instskip(NEXT) | instid1(SALU_CYCLE_1)
	s_add_nc_u64 s[16:17], s[20:21], s[16:17]
	s_add_co_u32 s2, s14, s16
	s_cselect_b32 s7, -1, 0
	s_delay_alu instid0(SALU_CYCLE_1)
	s_cmp_lg_u32 s7, 0
	s_add_co_ci_u32 s20, s15, s17
	s_mov_b64 s[14:15], 0xffffffff
	v_mul_u64_e32 v[16:17], s[20:21], v[12:13]
	v_mul_hi_u32 v12, v10, s2
	s_and_b64 s[14:15], s[2:3], s[14:15]
	s_delay_alu instid0(VALU_DEP_1) | instskip(SKIP_1) | instid1(VALU_DEP_1)
	v_add_nc_u64_e32 v[16:17], v[12:13], v[16:17]
	v_mov_b32_e32 v12, v11
	v_mul_u64_e32 v[18:19], s[14:15], v[12:13]
	v_mul_u64_e32 v[20:21], s[20:21], v[12:13]
	s_delay_alu instid0(VALU_DEP_2) | instskip(NEXT) | instid1(VALU_DEP_3)
	v_add_co_u32 v1, vcc_lo, v16, v18
	v_add_co_ci_u32_e32 v12, vcc_lo, v17, v19, vcc_lo
	s_delay_alu instid0(VALU_DEP_3) | instskip(NEXT) | instid1(VALU_DEP_1)
	v_add_co_ci_u32_e32 v21, vcc_lo, 0, v21, vcc_lo
	v_add_nc_u64_e32 v[12:13], v[12:13], v[20:21]
	s_delay_alu instid0(VALU_DEP_1) | instskip(NEXT) | instid1(VALU_DEP_1)
	v_mul_u64_e32 v[12:13], s[10:11], v[12:13]
	v_sub_nc_u32_e32 v1, v11, v13
	s_delay_alu instid0(VALU_DEP_2) | instskip(NEXT) | instid1(VALU_DEP_1)
	v_sub_co_u32 v10, vcc_lo, v10, v12
	v_sub_co_ci_u32_e64 v11, null, v11, v13, vcc_lo
	s_delay_alu instid0(VALU_DEP_3) | instskip(NEXT) | instid1(VALU_DEP_3)
	v_subrev_co_ci_u32_e64 v1, null, s11, v1, vcc_lo
	v_sub_co_u32 v12, vcc_lo, v10, s10
	v_cmp_le_u32_e64 s2, s10, v10
	s_delay_alu instid0(VALU_DEP_3) | instskip(SKIP_1) | instid1(VALU_DEP_3)
	v_subrev_co_ci_u32_e64 v13, null, 0, v1, vcc_lo
	v_subrev_co_ci_u32_e64 v1, null, s11, v1, vcc_lo
	v_cndmask_b32_e64 v16, 0, -1, s2
	v_cmp_le_u32_e64 s2, s10, v12
	v_cmp_le_u32_e32 vcc_lo, s11, v11
	s_delay_alu instid0(VALU_DEP_2) | instskip(SKIP_3) | instid1(VALU_DEP_3)
	v_cndmask_b32_e64 v17, 0, -1, s2
	v_cmp_le_u32_e64 s2, s11, v13
	v_cndmask_b32_e64 v19, 0, -1, vcc_lo
	v_cmp_eq_u32_e32 vcc_lo, s11, v13
	v_cndmask_b32_e64 v18, 0, -1, s2
	v_cmp_eq_u32_e64 s2, s11, v11
	s_delay_alu instid0(VALU_DEP_1) | instskip(SKIP_1) | instid1(VALU_DEP_1)
	v_dual_cndmask_b32 v17, v18, v17, vcc_lo :: v_dual_cndmask_b32 v16, v19, v16, s2
	v_sub_co_u32 v18, vcc_lo, v12, s10
	v_subrev_co_ci_u32_e64 v1, null, 0, v1, vcc_lo
	s_delay_alu instid0(VALU_DEP_3) | instskip(NEXT) | instid1(VALU_DEP_2)
	v_cmp_ne_u32_e32 vcc_lo, 0, v17
	v_dual_cndmask_b32 v1, v13, v1 :: v_dual_cndmask_b32 v12, v12, v18
	v_cmp_ne_u32_e32 vcc_lo, 0, v16
	s_delay_alu instid0(VALU_DEP_2) | instskip(NEXT) | instid1(VALU_DEP_1)
	v_dual_cndmask_b32 v11, v11, v1 :: v_dual_cndmask_b32 v10, v10, v12
	v_sub_nc_u64_e64 v[12:13], v[10:11], 0
.LBB57_6:
	s_or_saveexec_b32 s7, s3
	s_load_b64 s[2:3], s[0:1], 0x78
	s_xor_b32 exec_lo, exec_lo, s7
	s_cbranch_execz .LBB57_8
; %bb.7:
	v_cvt_f32_u32_e32 v1, s6
	s_sub_co_i32 s10, 0, s6
	v_mov_b32_e32 v13, 0
	s_delay_alu instid0(VALU_DEP_2) | instskip(SKIP_1) | instid1(TRANS32_DEP_1)
	v_rcp_iflag_f32_e32 v1, v1
	v_nop
	v_mul_f32_e32 v1, 0x4f7ffffe, v1
	s_delay_alu instid0(VALU_DEP_1) | instskip(NEXT) | instid1(VALU_DEP_1)
	v_cvt_u32_f32_e32 v1, v1
	v_mul_lo_u32 v10, s10, v1
	s_delay_alu instid0(VALU_DEP_1) | instskip(NEXT) | instid1(VALU_DEP_1)
	v_mul_hi_u32 v10, v1, v10
	v_add_nc_u32_e32 v1, v1, v10
	s_delay_alu instid0(VALU_DEP_1) | instskip(NEXT) | instid1(VALU_DEP_1)
	v_mul_hi_u32 v1, v14, v1
	v_mul_lo_u32 v1, v1, s6
	s_delay_alu instid0(VALU_DEP_1) | instskip(NEXT) | instid1(VALU_DEP_1)
	v_sub_nc_u32_e32 v1, v14, v1
	v_subrev_nc_u32_e32 v10, s6, v1
	v_cmp_le_u32_e32 vcc_lo, s6, v1
	s_delay_alu instid0(VALU_DEP_2) | instskip(NEXT) | instid1(VALU_DEP_1)
	v_cndmask_b32_e32 v1, v1, v10, vcc_lo
	v_subrev_nc_u32_e32 v10, s6, v1
	v_cmp_le_u32_e32 vcc_lo, s6, v1
	s_delay_alu instid0(VALU_DEP_2)
	v_cndmask_b32_e32 v12, v1, v10, vcc_lo
.LBB57_8:
	s_or_b32 exec_lo, exec_lo, s7
	s_wait_kmcnt 0x0
	v_lshl_add_u64 v[10:11], v[14:15], 3, s[2:3]
	s_mov_b32 s13, 0
	global_load_b64 v[10:11], v[10:11], off
	s_wait_loadcnt 0x0
	v_sub_nc_u64_e64 v[10:11], v[10:11], s[12:13]
	s_delay_alu instid0(VALU_DEP_1)
	v_cmp_lt_i64_e32 vcc_lo, -1, v[10:11]
	s_and_b32 exec_lo, exec_lo, vcc_lo
	s_cbranch_execz .LBB57_35
; %bb.9:
	s_clause 0x1
	s_load_b128 s[12:15], s[0:1], 0x0
	s_load_b64 s[2:3], s[0:1], 0x48
	s_wait_kmcnt 0x0
	s_cmp_eq_u32 s14, 1
	s_cselect_b32 s6, -1, 0
	s_cmp_eq_u32 s12, 0x6f
	s_cselect_b32 s7, -1, 0
	s_cmp_lg_u32 s12, 0x6f
	s_cselect_b32 s10, -1, 0
	s_cmp_lg_u32 s14, 1
	s_cbranch_scc0 .LBB57_13
; %bb.10:
	v_mov_b64_e32 v[16:17], v[12:13]
	s_and_not1_b32 vcc_lo, exec_lo, s7
	s_cbranch_vccnz .LBB57_12
; %bb.11:
	v_mul_u64_e32 v[16:17], s[2:3], v[12:13]
.LBB57_12:
	s_cbranch_execz .LBB57_14
	s_branch .LBB57_17
.LBB57_13:
                                        ; implicit-def: $vgpr16_vgpr17
.LBB57_14:
	s_and_not1_b32 vcc_lo, exec_lo, s10
	s_cbranch_vccnz .LBB57_16
; %bb.15:
	v_mul_u64_e32 v[12:13], s[2:3], v[12:13]
.LBB57_16:
	s_delay_alu instid0(VALU_DEP_1)
	v_mov_b64_e32 v[16:17], v[12:13]
.LBB57_17:
	s_cmp_eq_u32 s15, 1
	s_cselect_b32 s11, -1, 0
	s_cmp_eq_u32 s13, 0x6f
	s_cselect_b32 s12, -1, 0
	s_cmp_lg_u32 s13, 0x6f
	s_cselect_b32 s10, -1, 0
	s_cmp_lg_u32 s15, 1
	s_cbranch_scc0 .LBB57_21
; %bb.18:
	v_mov_b64_e32 v[18:19], v[10:11]
	s_and_not1_b32 vcc_lo, exec_lo, s10
	s_cbranch_vccnz .LBB57_20
; %bb.19:
	v_mul_u64_e32 v[18:19], s[8:9], v[10:11]
.LBB57_20:
	s_cbranch_execz .LBB57_22
	s_branch .LBB57_25
.LBB57_21:
                                        ; implicit-def: $vgpr18_vgpr19
.LBB57_22:
	s_and_not1_b32 vcc_lo, exec_lo, s12
	s_cbranch_vccnz .LBB57_24
; %bb.23:
	v_mul_u64_e32 v[10:11], s[8:9], v[10:11]
.LBB57_24:
	s_delay_alu instid0(VALU_DEP_1)
	v_mov_b64_e32 v[18:19], v[10:11]
.LBB57_25:
	v_mov_b64_e32 v[12:13], 0
	v_mov_b64_e32 v[10:11], 0
	v_dual_mov_b32 v1, 0 :: v_dual_bitop2_b32 v0, 3, v0 bitop3:0x40
	s_mov_b32 s10, exec_lo
	s_delay_alu instid0(VALU_DEP_1)
	v_cmpx_gt_i64_e64 s[4:5], v[0:1]
	s_cbranch_execz .LBB57_29
; %bb.26:
	s_xor_b32 s6, s7, s6
	v_lshlrev_b64_e32 v[16:17], 4, v[16:17]
	s_and_b32 s6, s6, exec_lo
	s_cselect_b32 s3, 0, s3
	s_cselect_b32 s2, 1, s2
	s_xor_b32 s6, s12, s11
	v_mul_u64_e32 v[10:11], s[2:3], v[0:1]
	s_and_b32 s6, s6, exec_lo
	s_cselect_b32 s7, s9, 0
	s_cselect_b32 s6, s8, 1
	s_clause 0x1
	s_load_b64 s[8:9], s[0:1], 0x40
	s_load_b64 s[12:13], s[0:1], 0x50
	v_mul_u64_e32 v[12:13], s[6:7], v[0:1]
	v_lshlrev_b64_e32 v[18:19], 4, v[18:19]
	v_mov_b64_e32 v[20:21], v[0:1]
	s_lshl_b64 s[2:3], s[2:3], 6
	s_lshl_b64 s[6:7], s[6:7], 6
	s_delay_alu instid0(VALU_DEP_4) | instskip(NEXT) | instid1(VALU_DEP_3)
	v_lshl_add_u64 v[10:11], v[10:11], 4, v[16:17]
	v_lshl_add_u64 v[12:13], v[12:13], 4, v[18:19]
	s_wait_kmcnt 0x0
	s_delay_alu instid0(VALU_DEP_2) | instskip(SKIP_1) | instid1(VALU_DEP_2)
	v_add_nc_u64_e32 v[10:11], s[8:9], v[10:11]
	s_mov_b32 s8, 0
	v_add_nc_u64_e32 v[18:19], s[12:13], v[12:13]
	v_mov_b64_e32 v[12:13], 0
	s_delay_alu instid0(VALU_DEP_3) | instskip(NEXT) | instid1(VALU_DEP_3)
	v_add_nc_u64_e32 v[16:17], 8, v[10:11]
	v_add_nc_u64_e32 v[18:19], 8, v[18:19]
	s_delay_alu instid0(VALU_DEP_3)
	v_mov_b64_e32 v[10:11], v[12:13]
.LBB57_27:                              ; =>This Inner Loop Header: Depth=1
	global_load_b128 v[24:27], v[18:19], off offset:-8
	global_load_b128 v[28:31], v[16:17], off offset:-8
	v_add_nc_u64_e32 v[20:21], 4, v[20:21]
	s_wait_xcnt 0x0
	v_add_nc_u64_e32 v[16:17], s[2:3], v[16:17]
	v_add_nc_u64_e32 v[18:19], s[6:7], v[18:19]
	s_delay_alu instid0(VALU_DEP_3) | instskip(SKIP_4) | instid1(VALU_DEP_2)
	v_cmp_le_i64_e32 vcc_lo, s[4:5], v[20:21]
	s_or_b32 s8, vcc_lo, s8
	s_wait_loadcnt 0x0
	v_mul_f64_e64 v[32:33], v[26:27], -v[30:31]
	v_mul_f64_e32 v[26:27], v[26:27], v[28:29]
	v_fmac_f64_e32 v[32:33], v[28:29], v[24:25]
	s_delay_alu instid0(VALU_DEP_2) | instskip(NEXT) | instid1(VALU_DEP_2)
	v_fmac_f64_e32 v[26:27], v[30:31], v[24:25]
	v_add_f64_e32 v[10:11], v[10:11], v[32:33]
	s_delay_alu instid0(VALU_DEP_2)
	v_add_f64_e32 v[12:13], v[12:13], v[26:27]
	s_and_not1_b32 exec_lo, exec_lo, s8
	s_cbranch_execnz .LBB57_27
; %bb.28:
	s_or_b32 exec_lo, exec_lo, s8
.LBB57_29:
	s_delay_alu instid0(SALU_CYCLE_1) | instskip(SKIP_3) | instid1(VALU_DEP_1)
	s_or_b32 exec_lo, exec_lo, s10
	s_load_b64 s[0:1], s[0:1], 0x70
	v_lshlrev_b32_e32 v1, 6, v22
	s_mov_b32 s2, exec_lo
	v_lshl_or_b32 v16, v0, 4, v1
	ds_store_b128 v16, v[10:13]
	s_wait_dscnt 0x0
	s_barrier_signal -1
	s_barrier_wait -1
	v_cmpx_gt_u32_e32 2, v0
	s_cbranch_execz .LBB57_31
; %bb.30:
	ds_load_b128 v[10:13], v16
	ds_load_b128 v[18:21], v16 offset:32
	s_wait_dscnt 0x0
	v_add_f64_e32 v[10:11], v[18:19], v[10:11]
	v_add_f64_e32 v[12:13], v[20:21], v[12:13]
	ds_store_b128 v16, v[10:13]
.LBB57_31:
	s_or_b32 exec_lo, exec_lo, s2
	v_cmp_eq_u32_e32 vcc_lo, 0, v0
	s_wait_dscnt 0x0
	s_barrier_signal -1
	s_barrier_wait -1
	s_and_saveexec_b32 s2, vcc_lo
	s_cbranch_execz .LBB57_33
; %bb.32:
	ds_load_b128 v[10:13], v16
	ds_load_b128 v[18:21], v16 offset:16
	s_wait_dscnt 0x0
	v_add_f64_e32 v[10:11], v[18:19], v[10:11]
	v_add_f64_e32 v[12:13], v[20:21], v[12:13]
	ds_store_b128 v16, v[10:13]
.LBB57_33:
	s_or_b32 exec_lo, exec_lo, s2
	s_wait_dscnt 0x0
	s_barrier_signal -1
	s_barrier_wait -1
	s_and_b32 exec_lo, exec_lo, vcc_lo
	s_cbranch_execz .LBB57_35
; %bb.34:
	s_wait_kmcnt 0x0
	v_lshl_add_u64 v[18:19], v[14:15], 4, s[0:1]
	ds_load_b128 v[14:17], v1
	global_load_b128 v[10:13], v[18:19], off
	s_wait_dscnt 0x0
	v_mul_f64_e64 v[0:1], v[16:17], -v[4:5]
	v_mul_f64_e32 v[16:17], v[2:3], v[16:17]
	s_delay_alu instid0(VALU_DEP_2) | instskip(NEXT) | instid1(VALU_DEP_2)
	v_fmac_f64_e32 v[0:1], v[2:3], v[14:15]
	v_fmac_f64_e32 v[16:17], v[4:5], v[14:15]
	s_wait_loadcnt 0x0
	v_mul_f64_e64 v[20:21], v[8:9], -v[12:13]
	v_mul_f64_e32 v[8:9], v[8:9], v[10:11]
	s_delay_alu instid0(VALU_DEP_2) | instskip(NEXT) | instid1(VALU_DEP_2)
	v_fmac_f64_e32 v[20:21], v[10:11], v[6:7]
	v_fmac_f64_e32 v[8:9], v[12:13], v[6:7]
	s_delay_alu instid0(VALU_DEP_2) | instskip(NEXT) | instid1(VALU_DEP_2)
	v_add_f64_e32 v[0:1], v[20:21], v[0:1]
	v_add_f64_e32 v[2:3], v[8:9], v[16:17]
	global_store_b128 v[18:19], v[0:3], off
.LBB57_35:
	s_endpgm
	.section	.rodata,"a",@progbits
	.p2align	6, 0x0
	.amdhsa_kernel _ZN9rocsparseL16sddmm_ell_kernelILi512ELi4E21rocsparse_complex_numIdEllS2_S2_S2_EEv20rocsparse_operation_S3_16rocsparse_order_S4_T3_S5_S5_T2_NS_24const_host_device_scalarIT1_EEPKT4_lPKT5_lS9_PT6_PKS5_21rocsparse_index_base_b
		.amdhsa_group_segment_fixed_size 8192
		.amdhsa_private_segment_fixed_size 0
		.amdhsa_kernarg_size 136
		.amdhsa_user_sgpr_count 2
		.amdhsa_user_sgpr_dispatch_ptr 0
		.amdhsa_user_sgpr_queue_ptr 0
		.amdhsa_user_sgpr_kernarg_segment_ptr 1
		.amdhsa_user_sgpr_dispatch_id 0
		.amdhsa_user_sgpr_kernarg_preload_length 0
		.amdhsa_user_sgpr_kernarg_preload_offset 0
		.amdhsa_user_sgpr_private_segment_size 0
		.amdhsa_wavefront_size32 1
		.amdhsa_uses_dynamic_stack 0
		.amdhsa_enable_private_segment 0
		.amdhsa_system_sgpr_workgroup_id_x 1
		.amdhsa_system_sgpr_workgroup_id_y 0
		.amdhsa_system_sgpr_workgroup_id_z 0
		.amdhsa_system_sgpr_workgroup_info 0
		.amdhsa_system_vgpr_workitem_id 0
		.amdhsa_next_free_vgpr 34
		.amdhsa_next_free_sgpr 24
		.amdhsa_named_barrier_count 0
		.amdhsa_reserve_vcc 1
		.amdhsa_float_round_mode_32 0
		.amdhsa_float_round_mode_16_64 0
		.amdhsa_float_denorm_mode_32 3
		.amdhsa_float_denorm_mode_16_64 3
		.amdhsa_fp16_overflow 0
		.amdhsa_memory_ordered 1
		.amdhsa_forward_progress 1
		.amdhsa_inst_pref_size 15
		.amdhsa_round_robin_scheduling 0
		.amdhsa_exception_fp_ieee_invalid_op 0
		.amdhsa_exception_fp_denorm_src 0
		.amdhsa_exception_fp_ieee_div_zero 0
		.amdhsa_exception_fp_ieee_overflow 0
		.amdhsa_exception_fp_ieee_underflow 0
		.amdhsa_exception_fp_ieee_inexact 0
		.amdhsa_exception_int_div_zero 0
	.end_amdhsa_kernel
	.section	.text._ZN9rocsparseL16sddmm_ell_kernelILi512ELi4E21rocsparse_complex_numIdEllS2_S2_S2_EEv20rocsparse_operation_S3_16rocsparse_order_S4_T3_S5_S5_T2_NS_24const_host_device_scalarIT1_EEPKT4_lPKT5_lS9_PT6_PKS5_21rocsparse_index_base_b,"axG",@progbits,_ZN9rocsparseL16sddmm_ell_kernelILi512ELi4E21rocsparse_complex_numIdEllS2_S2_S2_EEv20rocsparse_operation_S3_16rocsparse_order_S4_T3_S5_S5_T2_NS_24const_host_device_scalarIT1_EEPKT4_lPKT5_lS9_PT6_PKS5_21rocsparse_index_base_b,comdat
.Lfunc_end57:
	.size	_ZN9rocsparseL16sddmm_ell_kernelILi512ELi4E21rocsparse_complex_numIdEllS2_S2_S2_EEv20rocsparse_operation_S3_16rocsparse_order_S4_T3_S5_S5_T2_NS_24const_host_device_scalarIT1_EEPKT4_lPKT5_lS9_PT6_PKS5_21rocsparse_index_base_b, .Lfunc_end57-_ZN9rocsparseL16sddmm_ell_kernelILi512ELi4E21rocsparse_complex_numIdEllS2_S2_S2_EEv20rocsparse_operation_S3_16rocsparse_order_S4_T3_S5_S5_T2_NS_24const_host_device_scalarIT1_EEPKT4_lPKT5_lS9_PT6_PKS5_21rocsparse_index_base_b
                                        ; -- End function
	.set _ZN9rocsparseL16sddmm_ell_kernelILi512ELi4E21rocsparse_complex_numIdEllS2_S2_S2_EEv20rocsparse_operation_S3_16rocsparse_order_S4_T3_S5_S5_T2_NS_24const_host_device_scalarIT1_EEPKT4_lPKT5_lS9_PT6_PKS5_21rocsparse_index_base_b.num_vgpr, 34
	.set _ZN9rocsparseL16sddmm_ell_kernelILi512ELi4E21rocsparse_complex_numIdEllS2_S2_S2_EEv20rocsparse_operation_S3_16rocsparse_order_S4_T3_S5_S5_T2_NS_24const_host_device_scalarIT1_EEPKT4_lPKT5_lS9_PT6_PKS5_21rocsparse_index_base_b.num_agpr, 0
	.set _ZN9rocsparseL16sddmm_ell_kernelILi512ELi4E21rocsparse_complex_numIdEllS2_S2_S2_EEv20rocsparse_operation_S3_16rocsparse_order_S4_T3_S5_S5_T2_NS_24const_host_device_scalarIT1_EEPKT4_lPKT5_lS9_PT6_PKS5_21rocsparse_index_base_b.numbered_sgpr, 24
	.set _ZN9rocsparseL16sddmm_ell_kernelILi512ELi4E21rocsparse_complex_numIdEllS2_S2_S2_EEv20rocsparse_operation_S3_16rocsparse_order_S4_T3_S5_S5_T2_NS_24const_host_device_scalarIT1_EEPKT4_lPKT5_lS9_PT6_PKS5_21rocsparse_index_base_b.num_named_barrier, 0
	.set _ZN9rocsparseL16sddmm_ell_kernelILi512ELi4E21rocsparse_complex_numIdEllS2_S2_S2_EEv20rocsparse_operation_S3_16rocsparse_order_S4_T3_S5_S5_T2_NS_24const_host_device_scalarIT1_EEPKT4_lPKT5_lS9_PT6_PKS5_21rocsparse_index_base_b.private_seg_size, 0
	.set _ZN9rocsparseL16sddmm_ell_kernelILi512ELi4E21rocsparse_complex_numIdEllS2_S2_S2_EEv20rocsparse_operation_S3_16rocsparse_order_S4_T3_S5_S5_T2_NS_24const_host_device_scalarIT1_EEPKT4_lPKT5_lS9_PT6_PKS5_21rocsparse_index_base_b.uses_vcc, 1
	.set _ZN9rocsparseL16sddmm_ell_kernelILi512ELi4E21rocsparse_complex_numIdEllS2_S2_S2_EEv20rocsparse_operation_S3_16rocsparse_order_S4_T3_S5_S5_T2_NS_24const_host_device_scalarIT1_EEPKT4_lPKT5_lS9_PT6_PKS5_21rocsparse_index_base_b.uses_flat_scratch, 0
	.set _ZN9rocsparseL16sddmm_ell_kernelILi512ELi4E21rocsparse_complex_numIdEllS2_S2_S2_EEv20rocsparse_operation_S3_16rocsparse_order_S4_T3_S5_S5_T2_NS_24const_host_device_scalarIT1_EEPKT4_lPKT5_lS9_PT6_PKS5_21rocsparse_index_base_b.has_dyn_sized_stack, 0
	.set _ZN9rocsparseL16sddmm_ell_kernelILi512ELi4E21rocsparse_complex_numIdEllS2_S2_S2_EEv20rocsparse_operation_S3_16rocsparse_order_S4_T3_S5_S5_T2_NS_24const_host_device_scalarIT1_EEPKT4_lPKT5_lS9_PT6_PKS5_21rocsparse_index_base_b.has_recursion, 0
	.set _ZN9rocsparseL16sddmm_ell_kernelILi512ELi4E21rocsparse_complex_numIdEllS2_S2_S2_EEv20rocsparse_operation_S3_16rocsparse_order_S4_T3_S5_S5_T2_NS_24const_host_device_scalarIT1_EEPKT4_lPKT5_lS9_PT6_PKS5_21rocsparse_index_base_b.has_indirect_call, 0
	.section	.AMDGPU.csdata,"",@progbits
; Kernel info:
; codeLenInByte = 1860
; TotalNumSgprs: 26
; NumVgprs: 34
; ScratchSize: 0
; MemoryBound: 0
; FloatMode: 240
; IeeeMode: 1
; LDSByteSize: 8192 bytes/workgroup (compile time only)
; SGPRBlocks: 0
; VGPRBlocks: 2
; NumSGPRsForWavesPerEU: 26
; NumVGPRsForWavesPerEU: 34
; NamedBarCnt: 0
; Occupancy: 16
; WaveLimiterHint : 1
; COMPUTE_PGM_RSRC2:SCRATCH_EN: 0
; COMPUTE_PGM_RSRC2:USER_SGPR: 2
; COMPUTE_PGM_RSRC2:TRAP_HANDLER: 0
; COMPUTE_PGM_RSRC2:TGID_X_EN: 1
; COMPUTE_PGM_RSRC2:TGID_Y_EN: 0
; COMPUTE_PGM_RSRC2:TGID_Z_EN: 0
; COMPUTE_PGM_RSRC2:TIDIG_COMP_CNT: 0
	.section	.text._ZN9rocsparseL16sddmm_ell_kernelILi512ELi2E21rocsparse_complex_numIdEllS2_S2_S2_EEv20rocsparse_operation_S3_16rocsparse_order_S4_T3_S5_S5_T2_NS_24const_host_device_scalarIT1_EEPKT4_lPKT5_lS9_PT6_PKS5_21rocsparse_index_base_b,"axG",@progbits,_ZN9rocsparseL16sddmm_ell_kernelILi512ELi2E21rocsparse_complex_numIdEllS2_S2_S2_EEv20rocsparse_operation_S3_16rocsparse_order_S4_T3_S5_S5_T2_NS_24const_host_device_scalarIT1_EEPKT4_lPKT5_lS9_PT6_PKS5_21rocsparse_index_base_b,comdat
	.globl	_ZN9rocsparseL16sddmm_ell_kernelILi512ELi2E21rocsparse_complex_numIdEllS2_S2_S2_EEv20rocsparse_operation_S3_16rocsparse_order_S4_T3_S5_S5_T2_NS_24const_host_device_scalarIT1_EEPKT4_lPKT5_lS9_PT6_PKS5_21rocsparse_index_base_b ; -- Begin function _ZN9rocsparseL16sddmm_ell_kernelILi512ELi2E21rocsparse_complex_numIdEllS2_S2_S2_EEv20rocsparse_operation_S3_16rocsparse_order_S4_T3_S5_S5_T2_NS_24const_host_device_scalarIT1_EEPKT4_lPKT5_lS9_PT6_PKS5_21rocsparse_index_base_b
	.p2align	8
	.type	_ZN9rocsparseL16sddmm_ell_kernelILi512ELi2E21rocsparse_complex_numIdEllS2_S2_S2_EEv20rocsparse_operation_S3_16rocsparse_order_S4_T3_S5_S5_T2_NS_24const_host_device_scalarIT1_EEPKT4_lPKT5_lS9_PT6_PKS5_21rocsparse_index_base_b,@function
_ZN9rocsparseL16sddmm_ell_kernelILi512ELi2E21rocsparse_complex_numIdEllS2_S2_S2_EEv20rocsparse_operation_S3_16rocsparse_order_S4_T3_S5_S5_T2_NS_24const_host_device_scalarIT1_EEPKT4_lPKT5_lS9_PT6_PKS5_21rocsparse_index_base_b: ; @_ZN9rocsparseL16sddmm_ell_kernelILi512ELi2E21rocsparse_complex_numIdEllS2_S2_S2_EEv20rocsparse_operation_S3_16rocsparse_order_S4_T3_S5_S5_T2_NS_24const_host_device_scalarIT1_EEPKT4_lPKT5_lS9_PT6_PKS5_21rocsparse_index_base_b
; %bb.0:
	s_clause 0x1
	s_load_b64 s[12:13], s[0:1], 0x80
	s_load_b64 s[2:3], s[0:1], 0x30
	v_mov_b32_e32 v1, 0
	s_add_nc_u64 s[4:5], s[0:1], 48
	s_load_b128 s[8:11], s[0:1], 0x58
	s_wait_kmcnt 0x0
	s_bitcmp1_b32 s13, 0
	s_cselect_b32 s3, s5, s3
	s_cselect_b32 s2, s4, s2
	flat_load_b128 v[2:5], v1, s[2:3]
	s_wait_xcnt 0x0
	s_add_nc_u64 s[2:3], s[0:1], 0x60
	s_delay_alu instid0(SALU_CYCLE_1)
	s_cselect_b32 s3, s3, s11
	s_cselect_b32 s2, s2, s10
	flat_load_b128 v[6:9], v1, s[2:3]
	s_wait_loadcnt_dscnt 0x101
	v_cmp_eq_f64_e32 vcc_lo, 0, v[2:3]
	s_wait_xcnt 0x0
	v_cmp_eq_f64_e64 s2, 0, v[4:5]
	s_and_b32 s4, vcc_lo, s2
	s_mov_b32 s2, -1
	s_and_saveexec_b32 s3, s4
	s_cbranch_execz .LBB58_2
; %bb.1:
	s_wait_loadcnt_dscnt 0x0
	v_cmp_neq_f64_e32 vcc_lo, 1.0, v[6:7]
	v_cmp_neq_f64_e64 s2, 0, v[8:9]
	s_or_b32 s2, vcc_lo, s2
	s_delay_alu instid0(SALU_CYCLE_1)
	s_or_not1_b32 s2, s2, exec_lo
.LBB58_2:
	s_or_b32 exec_lo, exec_lo, s3
	s_and_saveexec_b32 s3, s2
	s_cbranch_execz .LBB58_33
; %bb.3:
	s_load_b128 s[4:7], s[0:1], 0x20
	s_bfe_u32 s2, ttmp6, 0x4000c
	s_and_b32 s3, ttmp6, 15
	s_add_co_i32 s2, s2, 1
	s_getreg_b32 s10, hwreg(HW_REG_IB_STS2, 6, 4)
	s_mul_i32 s2, ttmp9, s2
	v_dual_mov_b32 v15, 0 :: v_dual_lshrrev_b32 v22, 1, v0
	s_add_co_i32 s3, s3, s2
	s_cmp_eq_u32 s10, 0
	s_cselect_b32 s2, ttmp9, s3
	s_delay_alu instid0(VALU_DEP_1) | instid1(SALU_CYCLE_1)
	v_lshl_or_b32 v14, s2, 8, v22
	s_wait_kmcnt 0x0
	s_delay_alu instid0(VALU_DEP_1)
	v_cmp_gt_i64_e32 vcc_lo, s[6:7], v[14:15]
	s_and_b32 exec_lo, exec_lo, vcc_lo
	s_cbranch_execz .LBB58_33
; %bb.4:
	s_load_b64 s[6:7], s[0:1], 0x10
                                        ; implicit-def: $vgpr12_vgpr13
	s_wait_kmcnt 0x0
	s_and_b64 s[2:3], s[6:7], 0xffffffff00000000
	s_delay_alu instid0(SALU_CYCLE_1) | instskip(SKIP_1) | instid1(SALU_CYCLE_1)
	s_cmp_lg_u64 s[2:3], 0
	s_cselect_b32 s2, -1, 0
	s_and_saveexec_b32 s3, s2
	s_delay_alu instid0(SALU_CYCLE_1)
	s_xor_b32 s3, exec_lo, s3
	s_cbranch_execz .LBB58_6
; %bb.5:
	s_ashr_i32 s10, s7, 31
	s_mov_b32 s21, 0
	s_mov_b32 s11, s10
	v_add_nc_u64_e32 v[10:11], 0, v[14:15]
	s_add_nc_u64 s[14:15], s[6:7], s[10:11]
	v_mov_b32_e32 v13, 0
	s_xor_b64 s[10:11], s[14:15], s[10:11]
	s_delay_alu instid0(SALU_CYCLE_1) | instskip(SKIP_3) | instid1(SALU_CYCLE_1)
	s_cvt_f32_u32 s2, s10
	s_cvt_f32_u32 s7, s11
	s_sub_nc_u64 s[16:17], 0, s[10:11]
	v_mov_b32_e32 v12, v10
	s_fmamk_f32 s2, s7, 0x4f800000, s2
	s_delay_alu instid0(SALU_CYCLE_3) | instskip(NEXT) | instid1(TRANS32_DEP_1)
	v_s_rcp_f32 s2, s2
	s_mul_f32 s2, s2, 0x5f7ffffc
	s_delay_alu instid0(SALU_CYCLE_3) | instskip(NEXT) | instid1(SALU_CYCLE_3)
	s_mul_f32 s7, s2, 0x2f800000
	s_trunc_f32 s7, s7
	s_delay_alu instid0(SALU_CYCLE_3) | instskip(SKIP_1) | instid1(SALU_CYCLE_2)
	s_fmamk_f32 s2, s7, 0xcf800000, s2
	s_cvt_u32_f32 s15, s7
	s_cvt_u32_f32 s14, s2
	s_delay_alu instid0(SALU_CYCLE_3) | instskip(NEXT) | instid1(SALU_CYCLE_1)
	s_mul_u64 s[18:19], s[16:17], s[14:15]
	s_mul_hi_u32 s23, s14, s19
	s_mul_i32 s22, s14, s19
	s_mul_hi_u32 s20, s14, s18
	s_mul_i32 s7, s15, s18
	s_add_nc_u64 s[22:23], s[20:21], s[22:23]
	s_mul_hi_u32 s2, s15, s18
	s_mul_hi_u32 s13, s15, s19
	s_add_co_u32 s7, s22, s7
	s_add_co_ci_u32 s20, s23, s2
	s_mul_i32 s18, s15, s19
	s_add_co_ci_u32 s19, s13, 0
	s_delay_alu instid0(SALU_CYCLE_1) | instskip(NEXT) | instid1(SALU_CYCLE_1)
	s_add_nc_u64 s[18:19], s[20:21], s[18:19]
	s_add_co_u32 s14, s14, s18
	s_cselect_b32 s2, -1, 0
	s_delay_alu instid0(SALU_CYCLE_1) | instskip(SKIP_1) | instid1(SALU_CYCLE_1)
	s_cmp_lg_u32 s2, 0
	s_add_co_ci_u32 s15, s15, s19
	s_mul_u64 s[16:17], s[16:17], s[14:15]
	s_delay_alu instid0(SALU_CYCLE_1)
	s_mul_hi_u32 s19, s14, s17
	s_mul_i32 s18, s14, s17
	s_mul_hi_u32 s20, s14, s16
	s_mul_i32 s7, s15, s16
	s_add_nc_u64 s[18:19], s[20:21], s[18:19]
	s_mul_hi_u32 s2, s15, s16
	s_mul_hi_u32 s13, s15, s17
	s_add_co_u32 s7, s18, s7
	s_add_co_ci_u32 s20, s19, s2
	s_mul_i32 s16, s15, s17
	s_add_co_ci_u32 s17, s13, 0
	s_delay_alu instid0(SALU_CYCLE_1) | instskip(NEXT) | instid1(SALU_CYCLE_1)
	s_add_nc_u64 s[16:17], s[20:21], s[16:17]
	s_add_co_u32 s2, s14, s16
	s_cselect_b32 s7, -1, 0
	s_delay_alu instid0(SALU_CYCLE_1)
	s_cmp_lg_u32 s7, 0
	s_add_co_ci_u32 s20, s15, s17
	s_mov_b64 s[14:15], 0xffffffff
	v_mul_u64_e32 v[16:17], s[20:21], v[12:13]
	v_mul_hi_u32 v12, v10, s2
	s_and_b64 s[14:15], s[2:3], s[14:15]
	s_delay_alu instid0(VALU_DEP_1) | instskip(SKIP_1) | instid1(VALU_DEP_1)
	v_add_nc_u64_e32 v[16:17], v[12:13], v[16:17]
	v_mov_b32_e32 v12, v11
	v_mul_u64_e32 v[18:19], s[14:15], v[12:13]
	v_mul_u64_e32 v[20:21], s[20:21], v[12:13]
	s_delay_alu instid0(VALU_DEP_2) | instskip(NEXT) | instid1(VALU_DEP_3)
	v_add_co_u32 v1, vcc_lo, v16, v18
	v_add_co_ci_u32_e32 v12, vcc_lo, v17, v19, vcc_lo
	s_delay_alu instid0(VALU_DEP_3) | instskip(NEXT) | instid1(VALU_DEP_1)
	v_add_co_ci_u32_e32 v21, vcc_lo, 0, v21, vcc_lo
	v_add_nc_u64_e32 v[12:13], v[12:13], v[20:21]
	s_delay_alu instid0(VALU_DEP_1) | instskip(NEXT) | instid1(VALU_DEP_1)
	v_mul_u64_e32 v[12:13], s[10:11], v[12:13]
	v_sub_nc_u32_e32 v1, v11, v13
	s_delay_alu instid0(VALU_DEP_2) | instskip(NEXT) | instid1(VALU_DEP_1)
	v_sub_co_u32 v10, vcc_lo, v10, v12
	v_sub_co_ci_u32_e64 v11, null, v11, v13, vcc_lo
	s_delay_alu instid0(VALU_DEP_3) | instskip(NEXT) | instid1(VALU_DEP_3)
	v_subrev_co_ci_u32_e64 v1, null, s11, v1, vcc_lo
	v_sub_co_u32 v12, vcc_lo, v10, s10
	v_cmp_le_u32_e64 s2, s10, v10
	s_delay_alu instid0(VALU_DEP_3) | instskip(SKIP_1) | instid1(VALU_DEP_3)
	v_subrev_co_ci_u32_e64 v13, null, 0, v1, vcc_lo
	v_subrev_co_ci_u32_e64 v1, null, s11, v1, vcc_lo
	v_cndmask_b32_e64 v16, 0, -1, s2
	v_cmp_le_u32_e64 s2, s10, v12
	v_cmp_le_u32_e32 vcc_lo, s11, v11
	s_delay_alu instid0(VALU_DEP_2) | instskip(SKIP_3) | instid1(VALU_DEP_3)
	v_cndmask_b32_e64 v17, 0, -1, s2
	v_cmp_le_u32_e64 s2, s11, v13
	v_cndmask_b32_e64 v19, 0, -1, vcc_lo
	v_cmp_eq_u32_e32 vcc_lo, s11, v13
	v_cndmask_b32_e64 v18, 0, -1, s2
	v_cmp_eq_u32_e64 s2, s11, v11
	s_delay_alu instid0(VALU_DEP_1) | instskip(SKIP_1) | instid1(VALU_DEP_1)
	v_dual_cndmask_b32 v17, v18, v17, vcc_lo :: v_dual_cndmask_b32 v16, v19, v16, s2
	v_sub_co_u32 v18, vcc_lo, v12, s10
	v_subrev_co_ci_u32_e64 v1, null, 0, v1, vcc_lo
	s_delay_alu instid0(VALU_DEP_3) | instskip(NEXT) | instid1(VALU_DEP_2)
	v_cmp_ne_u32_e32 vcc_lo, 0, v17
	v_dual_cndmask_b32 v1, v13, v1 :: v_dual_cndmask_b32 v12, v12, v18
	v_cmp_ne_u32_e32 vcc_lo, 0, v16
	s_delay_alu instid0(VALU_DEP_2) | instskip(NEXT) | instid1(VALU_DEP_1)
	v_dual_cndmask_b32 v11, v11, v1 :: v_dual_cndmask_b32 v10, v10, v12
	v_sub_nc_u64_e64 v[12:13], v[10:11], 0
.LBB58_6:
	s_or_saveexec_b32 s7, s3
	s_load_b64 s[2:3], s[0:1], 0x78
	s_xor_b32 exec_lo, exec_lo, s7
	s_cbranch_execz .LBB58_8
; %bb.7:
	v_cvt_f32_u32_e32 v1, s6
	s_sub_co_i32 s10, 0, s6
	v_mov_b32_e32 v13, 0
	s_delay_alu instid0(VALU_DEP_2) | instskip(SKIP_1) | instid1(TRANS32_DEP_1)
	v_rcp_iflag_f32_e32 v1, v1
	v_nop
	v_mul_f32_e32 v1, 0x4f7ffffe, v1
	s_delay_alu instid0(VALU_DEP_1) | instskip(NEXT) | instid1(VALU_DEP_1)
	v_cvt_u32_f32_e32 v1, v1
	v_mul_lo_u32 v10, s10, v1
	s_delay_alu instid0(VALU_DEP_1) | instskip(NEXT) | instid1(VALU_DEP_1)
	v_mul_hi_u32 v10, v1, v10
	v_add_nc_u32_e32 v1, v1, v10
	s_delay_alu instid0(VALU_DEP_1) | instskip(NEXT) | instid1(VALU_DEP_1)
	v_mul_hi_u32 v1, v14, v1
	v_mul_lo_u32 v1, v1, s6
	s_delay_alu instid0(VALU_DEP_1) | instskip(NEXT) | instid1(VALU_DEP_1)
	v_sub_nc_u32_e32 v1, v14, v1
	v_subrev_nc_u32_e32 v10, s6, v1
	v_cmp_le_u32_e32 vcc_lo, s6, v1
	s_delay_alu instid0(VALU_DEP_2) | instskip(NEXT) | instid1(VALU_DEP_1)
	v_cndmask_b32_e32 v1, v1, v10, vcc_lo
	v_subrev_nc_u32_e32 v10, s6, v1
	v_cmp_le_u32_e32 vcc_lo, s6, v1
	s_delay_alu instid0(VALU_DEP_2)
	v_cndmask_b32_e32 v12, v1, v10, vcc_lo
.LBB58_8:
	s_or_b32 exec_lo, exec_lo, s7
	s_wait_kmcnt 0x0
	v_lshl_add_u64 v[10:11], v[14:15], 3, s[2:3]
	s_mov_b32 s13, 0
	global_load_b64 v[10:11], v[10:11], off
	s_wait_loadcnt 0x0
	v_sub_nc_u64_e64 v[10:11], v[10:11], s[12:13]
	s_delay_alu instid0(VALU_DEP_1)
	v_cmp_lt_i64_e32 vcc_lo, -1, v[10:11]
	s_and_b32 exec_lo, exec_lo, vcc_lo
	s_cbranch_execz .LBB58_33
; %bb.9:
	s_clause 0x1
	s_load_b128 s[12:15], s[0:1], 0x0
	s_load_b64 s[2:3], s[0:1], 0x48
	s_wait_kmcnt 0x0
	s_cmp_eq_u32 s14, 1
	s_cselect_b32 s6, -1, 0
	s_cmp_eq_u32 s12, 0x6f
	s_cselect_b32 s7, -1, 0
	s_cmp_lg_u32 s12, 0x6f
	s_cselect_b32 s10, -1, 0
	s_cmp_lg_u32 s14, 1
	s_cbranch_scc0 .LBB58_13
; %bb.10:
	v_mov_b64_e32 v[16:17], v[12:13]
	s_and_not1_b32 vcc_lo, exec_lo, s7
	s_cbranch_vccnz .LBB58_12
; %bb.11:
	v_mul_u64_e32 v[16:17], s[2:3], v[12:13]
.LBB58_12:
	s_cbranch_execz .LBB58_14
	s_branch .LBB58_17
.LBB58_13:
                                        ; implicit-def: $vgpr16_vgpr17
.LBB58_14:
	s_and_not1_b32 vcc_lo, exec_lo, s10
	s_cbranch_vccnz .LBB58_16
; %bb.15:
	v_mul_u64_e32 v[12:13], s[2:3], v[12:13]
.LBB58_16:
	s_delay_alu instid0(VALU_DEP_1)
	v_mov_b64_e32 v[16:17], v[12:13]
.LBB58_17:
	s_cmp_eq_u32 s15, 1
	s_cselect_b32 s11, -1, 0
	s_cmp_eq_u32 s13, 0x6f
	s_cselect_b32 s12, -1, 0
	s_cmp_lg_u32 s13, 0x6f
	s_cselect_b32 s10, -1, 0
	s_cmp_lg_u32 s15, 1
	s_cbranch_scc0 .LBB58_21
; %bb.18:
	v_mov_b64_e32 v[18:19], v[10:11]
	s_and_not1_b32 vcc_lo, exec_lo, s10
	s_cbranch_vccnz .LBB58_20
; %bb.19:
	v_mul_u64_e32 v[18:19], s[8:9], v[10:11]
.LBB58_20:
	s_cbranch_execz .LBB58_22
	s_branch .LBB58_25
.LBB58_21:
                                        ; implicit-def: $vgpr18_vgpr19
.LBB58_22:
	s_and_not1_b32 vcc_lo, exec_lo, s12
	s_cbranch_vccnz .LBB58_24
; %bb.23:
	v_mul_u64_e32 v[10:11], s[8:9], v[10:11]
.LBB58_24:
	s_delay_alu instid0(VALU_DEP_1)
	v_mov_b64_e32 v[18:19], v[10:11]
.LBB58_25:
	v_mov_b64_e32 v[12:13], 0
	v_mov_b64_e32 v[10:11], 0
	v_dual_mov_b32 v1, 0 :: v_dual_bitop2_b32 v0, 1, v0 bitop3:0x40
	s_mov_b32 s10, exec_lo
	s_delay_alu instid0(VALU_DEP_1)
	v_cmpx_gt_i64_e64 s[4:5], v[0:1]
	s_cbranch_execz .LBB58_29
; %bb.26:
	s_xor_b32 s6, s7, s6
	v_lshlrev_b64_e32 v[16:17], 4, v[16:17]
	s_and_b32 s6, s6, exec_lo
	s_cselect_b32 s3, 0, s3
	s_cselect_b32 s2, 1, s2
	s_xor_b32 s6, s12, s11
	v_mul_u64_e32 v[10:11], s[2:3], v[0:1]
	s_and_b32 s6, s6, exec_lo
	s_cselect_b32 s7, s9, 0
	s_cselect_b32 s6, s8, 1
	s_clause 0x1
	s_load_b64 s[8:9], s[0:1], 0x40
	s_load_b64 s[12:13], s[0:1], 0x50
	v_mul_u64_e32 v[12:13], s[6:7], v[0:1]
	v_lshlrev_b64_e32 v[18:19], 4, v[18:19]
	v_mov_b64_e32 v[20:21], v[0:1]
	s_lshl_b64 s[2:3], s[2:3], 5
	s_lshl_b64 s[6:7], s[6:7], 5
	s_delay_alu instid0(VALU_DEP_4) | instskip(NEXT) | instid1(VALU_DEP_3)
	v_lshl_add_u64 v[10:11], v[10:11], 4, v[16:17]
	v_lshl_add_u64 v[12:13], v[12:13], 4, v[18:19]
	s_wait_kmcnt 0x0
	s_delay_alu instid0(VALU_DEP_2) | instskip(SKIP_1) | instid1(VALU_DEP_2)
	v_add_nc_u64_e32 v[10:11], s[8:9], v[10:11]
	s_mov_b32 s8, 0
	v_add_nc_u64_e32 v[18:19], s[12:13], v[12:13]
	v_mov_b64_e32 v[12:13], 0
	s_delay_alu instid0(VALU_DEP_3) | instskip(NEXT) | instid1(VALU_DEP_3)
	v_add_nc_u64_e32 v[16:17], 8, v[10:11]
	v_add_nc_u64_e32 v[18:19], 8, v[18:19]
	s_delay_alu instid0(VALU_DEP_3)
	v_mov_b64_e32 v[10:11], v[12:13]
.LBB58_27:                              ; =>This Inner Loop Header: Depth=1
	global_load_b128 v[24:27], v[18:19], off offset:-8
	global_load_b128 v[28:31], v[16:17], off offset:-8
	v_add_nc_u64_e32 v[20:21], 2, v[20:21]
	s_wait_xcnt 0x0
	v_add_nc_u64_e32 v[16:17], s[2:3], v[16:17]
	v_add_nc_u64_e32 v[18:19], s[6:7], v[18:19]
	s_delay_alu instid0(VALU_DEP_3) | instskip(SKIP_4) | instid1(VALU_DEP_2)
	v_cmp_le_i64_e32 vcc_lo, s[4:5], v[20:21]
	s_or_b32 s8, vcc_lo, s8
	s_wait_loadcnt 0x0
	v_mul_f64_e64 v[32:33], v[26:27], -v[30:31]
	v_mul_f64_e32 v[26:27], v[26:27], v[28:29]
	v_fmac_f64_e32 v[32:33], v[28:29], v[24:25]
	s_delay_alu instid0(VALU_DEP_2) | instskip(NEXT) | instid1(VALU_DEP_2)
	v_fmac_f64_e32 v[26:27], v[30:31], v[24:25]
	v_add_f64_e32 v[10:11], v[10:11], v[32:33]
	s_delay_alu instid0(VALU_DEP_2)
	v_add_f64_e32 v[12:13], v[12:13], v[26:27]
	s_and_not1_b32 exec_lo, exec_lo, s8
	s_cbranch_execnz .LBB58_27
; %bb.28:
	s_or_b32 exec_lo, exec_lo, s8
.LBB58_29:
	s_delay_alu instid0(SALU_CYCLE_1) | instskip(SKIP_3) | instid1(VALU_DEP_2)
	s_or_b32 exec_lo, exec_lo, s10
	s_load_b64 s[0:1], s[0:1], 0x70
	v_lshlrev_b32_e32 v1, 5, v22
	v_cmp_eq_u32_e32 vcc_lo, 0, v0
	v_lshl_or_b32 v16, v0, 4, v1
	ds_store_b128 v16, v[10:13]
	s_wait_dscnt 0x0
	s_barrier_signal -1
	s_barrier_wait -1
	s_and_saveexec_b32 s2, vcc_lo
	s_cbranch_execz .LBB58_31
; %bb.30:
	ds_load_b128 v[10:13], v1 offset:16
	ds_load_b128 v[18:21], v16
	s_wait_dscnt 0x0
	v_add_f64_e32 v[10:11], v[10:11], v[18:19]
	v_add_f64_e32 v[12:13], v[12:13], v[20:21]
	ds_store_b128 v16, v[10:13]
.LBB58_31:
	s_or_b32 exec_lo, exec_lo, s2
	s_wait_dscnt 0x0
	s_barrier_signal -1
	s_barrier_wait -1
	s_and_b32 exec_lo, exec_lo, vcc_lo
	s_cbranch_execz .LBB58_33
; %bb.32:
	s_wait_kmcnt 0x0
	v_lshl_add_u64 v[18:19], v[14:15], 4, s[0:1]
	ds_load_b128 v[14:17], v1
	global_load_b128 v[10:13], v[18:19], off
	s_wait_dscnt 0x0
	v_mul_f64_e64 v[0:1], v[16:17], -v[4:5]
	v_mul_f64_e32 v[16:17], v[2:3], v[16:17]
	s_delay_alu instid0(VALU_DEP_2) | instskip(NEXT) | instid1(VALU_DEP_2)
	v_fmac_f64_e32 v[0:1], v[2:3], v[14:15]
	v_fmac_f64_e32 v[16:17], v[4:5], v[14:15]
	s_wait_loadcnt 0x0
	v_mul_f64_e64 v[20:21], v[8:9], -v[12:13]
	v_mul_f64_e32 v[8:9], v[8:9], v[10:11]
	s_delay_alu instid0(VALU_DEP_2) | instskip(NEXT) | instid1(VALU_DEP_2)
	v_fmac_f64_e32 v[20:21], v[10:11], v[6:7]
	v_fmac_f64_e32 v[8:9], v[12:13], v[6:7]
	s_delay_alu instid0(VALU_DEP_2) | instskip(NEXT) | instid1(VALU_DEP_2)
	v_add_f64_e32 v[0:1], v[20:21], v[0:1]
	v_add_f64_e32 v[2:3], v[8:9], v[16:17]
	global_store_b128 v[18:19], v[0:3], off
.LBB58_33:
	s_endpgm
	.section	.rodata,"a",@progbits
	.p2align	6, 0x0
	.amdhsa_kernel _ZN9rocsparseL16sddmm_ell_kernelILi512ELi2E21rocsparse_complex_numIdEllS2_S2_S2_EEv20rocsparse_operation_S3_16rocsparse_order_S4_T3_S5_S5_T2_NS_24const_host_device_scalarIT1_EEPKT4_lPKT5_lS9_PT6_PKS5_21rocsparse_index_base_b
		.amdhsa_group_segment_fixed_size 8192
		.amdhsa_private_segment_fixed_size 0
		.amdhsa_kernarg_size 136
		.amdhsa_user_sgpr_count 2
		.amdhsa_user_sgpr_dispatch_ptr 0
		.amdhsa_user_sgpr_queue_ptr 0
		.amdhsa_user_sgpr_kernarg_segment_ptr 1
		.amdhsa_user_sgpr_dispatch_id 0
		.amdhsa_user_sgpr_kernarg_preload_length 0
		.amdhsa_user_sgpr_kernarg_preload_offset 0
		.amdhsa_user_sgpr_private_segment_size 0
		.amdhsa_wavefront_size32 1
		.amdhsa_uses_dynamic_stack 0
		.amdhsa_enable_private_segment 0
		.amdhsa_system_sgpr_workgroup_id_x 1
		.amdhsa_system_sgpr_workgroup_id_y 0
		.amdhsa_system_sgpr_workgroup_id_z 0
		.amdhsa_system_sgpr_workgroup_info 0
		.amdhsa_system_vgpr_workitem_id 0
		.amdhsa_next_free_vgpr 34
		.amdhsa_next_free_sgpr 24
		.amdhsa_named_barrier_count 0
		.amdhsa_reserve_vcc 1
		.amdhsa_float_round_mode_32 0
		.amdhsa_float_round_mode_16_64 0
		.amdhsa_float_denorm_mode_32 3
		.amdhsa_float_denorm_mode_16_64 3
		.amdhsa_fp16_overflow 0
		.amdhsa_memory_ordered 1
		.amdhsa_forward_progress 1
		.amdhsa_inst_pref_size 15
		.amdhsa_round_robin_scheduling 0
		.amdhsa_exception_fp_ieee_invalid_op 0
		.amdhsa_exception_fp_denorm_src 0
		.amdhsa_exception_fp_ieee_div_zero 0
		.amdhsa_exception_fp_ieee_overflow 0
		.amdhsa_exception_fp_ieee_underflow 0
		.amdhsa_exception_fp_ieee_inexact 0
		.amdhsa_exception_int_div_zero 0
	.end_amdhsa_kernel
	.section	.text._ZN9rocsparseL16sddmm_ell_kernelILi512ELi2E21rocsparse_complex_numIdEllS2_S2_S2_EEv20rocsparse_operation_S3_16rocsparse_order_S4_T3_S5_S5_T2_NS_24const_host_device_scalarIT1_EEPKT4_lPKT5_lS9_PT6_PKS5_21rocsparse_index_base_b,"axG",@progbits,_ZN9rocsparseL16sddmm_ell_kernelILi512ELi2E21rocsparse_complex_numIdEllS2_S2_S2_EEv20rocsparse_operation_S3_16rocsparse_order_S4_T3_S5_S5_T2_NS_24const_host_device_scalarIT1_EEPKT4_lPKT5_lS9_PT6_PKS5_21rocsparse_index_base_b,comdat
.Lfunc_end58:
	.size	_ZN9rocsparseL16sddmm_ell_kernelILi512ELi2E21rocsparse_complex_numIdEllS2_S2_S2_EEv20rocsparse_operation_S3_16rocsparse_order_S4_T3_S5_S5_T2_NS_24const_host_device_scalarIT1_EEPKT4_lPKT5_lS9_PT6_PKS5_21rocsparse_index_base_b, .Lfunc_end58-_ZN9rocsparseL16sddmm_ell_kernelILi512ELi2E21rocsparse_complex_numIdEllS2_S2_S2_EEv20rocsparse_operation_S3_16rocsparse_order_S4_T3_S5_S5_T2_NS_24const_host_device_scalarIT1_EEPKT4_lPKT5_lS9_PT6_PKS5_21rocsparse_index_base_b
                                        ; -- End function
	.set _ZN9rocsparseL16sddmm_ell_kernelILi512ELi2E21rocsparse_complex_numIdEllS2_S2_S2_EEv20rocsparse_operation_S3_16rocsparse_order_S4_T3_S5_S5_T2_NS_24const_host_device_scalarIT1_EEPKT4_lPKT5_lS9_PT6_PKS5_21rocsparse_index_base_b.num_vgpr, 34
	.set _ZN9rocsparseL16sddmm_ell_kernelILi512ELi2E21rocsparse_complex_numIdEllS2_S2_S2_EEv20rocsparse_operation_S3_16rocsparse_order_S4_T3_S5_S5_T2_NS_24const_host_device_scalarIT1_EEPKT4_lPKT5_lS9_PT6_PKS5_21rocsparse_index_base_b.num_agpr, 0
	.set _ZN9rocsparseL16sddmm_ell_kernelILi512ELi2E21rocsparse_complex_numIdEllS2_S2_S2_EEv20rocsparse_operation_S3_16rocsparse_order_S4_T3_S5_S5_T2_NS_24const_host_device_scalarIT1_EEPKT4_lPKT5_lS9_PT6_PKS5_21rocsparse_index_base_b.numbered_sgpr, 24
	.set _ZN9rocsparseL16sddmm_ell_kernelILi512ELi2E21rocsparse_complex_numIdEllS2_S2_S2_EEv20rocsparse_operation_S3_16rocsparse_order_S4_T3_S5_S5_T2_NS_24const_host_device_scalarIT1_EEPKT4_lPKT5_lS9_PT6_PKS5_21rocsparse_index_base_b.num_named_barrier, 0
	.set _ZN9rocsparseL16sddmm_ell_kernelILi512ELi2E21rocsparse_complex_numIdEllS2_S2_S2_EEv20rocsparse_operation_S3_16rocsparse_order_S4_T3_S5_S5_T2_NS_24const_host_device_scalarIT1_EEPKT4_lPKT5_lS9_PT6_PKS5_21rocsparse_index_base_b.private_seg_size, 0
	.set _ZN9rocsparseL16sddmm_ell_kernelILi512ELi2E21rocsparse_complex_numIdEllS2_S2_S2_EEv20rocsparse_operation_S3_16rocsparse_order_S4_T3_S5_S5_T2_NS_24const_host_device_scalarIT1_EEPKT4_lPKT5_lS9_PT6_PKS5_21rocsparse_index_base_b.uses_vcc, 1
	.set _ZN9rocsparseL16sddmm_ell_kernelILi512ELi2E21rocsparse_complex_numIdEllS2_S2_S2_EEv20rocsparse_operation_S3_16rocsparse_order_S4_T3_S5_S5_T2_NS_24const_host_device_scalarIT1_EEPKT4_lPKT5_lS9_PT6_PKS5_21rocsparse_index_base_b.uses_flat_scratch, 0
	.set _ZN9rocsparseL16sddmm_ell_kernelILi512ELi2E21rocsparse_complex_numIdEllS2_S2_S2_EEv20rocsparse_operation_S3_16rocsparse_order_S4_T3_S5_S5_T2_NS_24const_host_device_scalarIT1_EEPKT4_lPKT5_lS9_PT6_PKS5_21rocsparse_index_base_b.has_dyn_sized_stack, 0
	.set _ZN9rocsparseL16sddmm_ell_kernelILi512ELi2E21rocsparse_complex_numIdEllS2_S2_S2_EEv20rocsparse_operation_S3_16rocsparse_order_S4_T3_S5_S5_T2_NS_24const_host_device_scalarIT1_EEPKT4_lPKT5_lS9_PT6_PKS5_21rocsparse_index_base_b.has_recursion, 0
	.set _ZN9rocsparseL16sddmm_ell_kernelILi512ELi2E21rocsparse_complex_numIdEllS2_S2_S2_EEv20rocsparse_operation_S3_16rocsparse_order_S4_T3_S5_S5_T2_NS_24const_host_device_scalarIT1_EEPKT4_lPKT5_lS9_PT6_PKS5_21rocsparse_index_base_b.has_indirect_call, 0
	.section	.AMDGPU.csdata,"",@progbits
; Kernel info:
; codeLenInByte = 1796
; TotalNumSgprs: 26
; NumVgprs: 34
; ScratchSize: 0
; MemoryBound: 0
; FloatMode: 240
; IeeeMode: 1
; LDSByteSize: 8192 bytes/workgroup (compile time only)
; SGPRBlocks: 0
; VGPRBlocks: 2
; NumSGPRsForWavesPerEU: 26
; NumVGPRsForWavesPerEU: 34
; NamedBarCnt: 0
; Occupancy: 16
; WaveLimiterHint : 1
; COMPUTE_PGM_RSRC2:SCRATCH_EN: 0
; COMPUTE_PGM_RSRC2:USER_SGPR: 2
; COMPUTE_PGM_RSRC2:TRAP_HANDLER: 0
; COMPUTE_PGM_RSRC2:TGID_X_EN: 1
; COMPUTE_PGM_RSRC2:TGID_Y_EN: 0
; COMPUTE_PGM_RSRC2:TGID_Z_EN: 0
; COMPUTE_PGM_RSRC2:TIDIG_COMP_CNT: 0
	.section	.text._ZN9rocsparseL16sddmm_ell_kernelILi512ELi1E21rocsparse_complex_numIdEllS2_S2_S2_EEv20rocsparse_operation_S3_16rocsparse_order_S4_T3_S5_S5_T2_NS_24const_host_device_scalarIT1_EEPKT4_lPKT5_lS9_PT6_PKS5_21rocsparse_index_base_b,"axG",@progbits,_ZN9rocsparseL16sddmm_ell_kernelILi512ELi1E21rocsparse_complex_numIdEllS2_S2_S2_EEv20rocsparse_operation_S3_16rocsparse_order_S4_T3_S5_S5_T2_NS_24const_host_device_scalarIT1_EEPKT4_lPKT5_lS9_PT6_PKS5_21rocsparse_index_base_b,comdat
	.globl	_ZN9rocsparseL16sddmm_ell_kernelILi512ELi1E21rocsparse_complex_numIdEllS2_S2_S2_EEv20rocsparse_operation_S3_16rocsparse_order_S4_T3_S5_S5_T2_NS_24const_host_device_scalarIT1_EEPKT4_lPKT5_lS9_PT6_PKS5_21rocsparse_index_base_b ; -- Begin function _ZN9rocsparseL16sddmm_ell_kernelILi512ELi1E21rocsparse_complex_numIdEllS2_S2_S2_EEv20rocsparse_operation_S3_16rocsparse_order_S4_T3_S5_S5_T2_NS_24const_host_device_scalarIT1_EEPKT4_lPKT5_lS9_PT6_PKS5_21rocsparse_index_base_b
	.p2align	8
	.type	_ZN9rocsparseL16sddmm_ell_kernelILi512ELi1E21rocsparse_complex_numIdEllS2_S2_S2_EEv20rocsparse_operation_S3_16rocsparse_order_S4_T3_S5_S5_T2_NS_24const_host_device_scalarIT1_EEPKT4_lPKT5_lS9_PT6_PKS5_21rocsparse_index_base_b,@function
_ZN9rocsparseL16sddmm_ell_kernelILi512ELi1E21rocsparse_complex_numIdEllS2_S2_S2_EEv20rocsparse_operation_S3_16rocsparse_order_S4_T3_S5_S5_T2_NS_24const_host_device_scalarIT1_EEPKT4_lPKT5_lS9_PT6_PKS5_21rocsparse_index_base_b: ; @_ZN9rocsparseL16sddmm_ell_kernelILi512ELi1E21rocsparse_complex_numIdEllS2_S2_S2_EEv20rocsparse_operation_S3_16rocsparse_order_S4_T3_S5_S5_T2_NS_24const_host_device_scalarIT1_EEPKT4_lPKT5_lS9_PT6_PKS5_21rocsparse_index_base_b
; %bb.0:
	s_clause 0x1
	s_load_b64 s[12:13], s[0:1], 0x80
	s_load_b64 s[2:3], s[0:1], 0x30
	v_mov_b32_e32 v1, 0
	s_add_nc_u64 s[8:9], s[0:1], 48
	s_load_b128 s[4:7], s[0:1], 0x58
	s_wait_kmcnt 0x0
	s_bitcmp1_b32 s13, 0
	s_cselect_b32 s3, s9, s3
	s_cselect_b32 s2, s8, s2
	flat_load_b128 v[2:5], v1, s[2:3]
	s_wait_xcnt 0x0
	s_add_nc_u64 s[2:3], s[0:1], 0x60
	s_delay_alu instid0(SALU_CYCLE_1)
	s_cselect_b32 s3, s3, s7
	s_cselect_b32 s2, s2, s6
	flat_load_b128 v[6:9], v1, s[2:3]
	s_wait_loadcnt_dscnt 0x101
	v_cmp_eq_f64_e32 vcc_lo, 0, v[2:3]
	s_wait_xcnt 0x0
	v_cmp_eq_f64_e64 s2, 0, v[4:5]
	s_and_b32 s6, vcc_lo, s2
	s_mov_b32 s2, -1
	s_and_saveexec_b32 s3, s6
	s_cbranch_execz .LBB59_2
; %bb.1:
	s_wait_loadcnt_dscnt 0x0
	v_cmp_neq_f64_e32 vcc_lo, 1.0, v[6:7]
	v_cmp_neq_f64_e64 s2, 0, v[8:9]
	s_or_b32 s2, vcc_lo, s2
	s_delay_alu instid0(SALU_CYCLE_1)
	s_or_not1_b32 s2, s2, exec_lo
.LBB59_2:
	s_or_b32 exec_lo, exec_lo, s3
	s_and_saveexec_b32 s3, s2
	s_cbranch_execz .LBB59_30
; %bb.3:
	s_load_b128 s[8:11], s[0:1], 0x20
	s_bfe_u32 s2, ttmp6, 0x4000c
	s_and_b32 s3, ttmp6, 15
	s_add_co_i32 s2, s2, 1
	s_getreg_b32 s6, hwreg(HW_REG_IB_STS2, 6, 4)
	s_mul_i32 s2, ttmp9, s2
	v_mov_b32_e32 v15, 0
	s_add_co_i32 s3, s3, s2
	s_cmp_eq_u32 s6, 0
	s_cselect_b32 s2, ttmp9, s3
	s_delay_alu instid0(SALU_CYCLE_1) | instskip(SKIP_1) | instid1(VALU_DEP_1)
	v_lshl_or_b32 v14, s2, 9, v0
	s_wait_kmcnt 0x0
	v_cmp_gt_i64_e32 vcc_lo, s[10:11], v[14:15]
	s_and_b32 exec_lo, exec_lo, vcc_lo
	s_cbranch_execz .LBB59_30
; %bb.4:
	s_load_b64 s[6:7], s[0:1], 0x10
                                        ; implicit-def: $vgpr16_vgpr17
	s_wait_kmcnt 0x0
	s_and_b64 s[2:3], s[6:7], 0xffffffff00000000
	s_delay_alu instid0(SALU_CYCLE_1) | instskip(SKIP_1) | instid1(SALU_CYCLE_1)
	s_cmp_lg_u64 s[2:3], 0
	s_cselect_b32 s2, -1, 0
	s_and_saveexec_b32 s3, s2
	s_delay_alu instid0(SALU_CYCLE_1)
	s_xor_b32 s3, exec_lo, s3
	s_cbranch_execz .LBB59_6
; %bb.5:
	s_ashr_i32 s10, s7, 31
	s_mov_b32 s21, 0
	s_mov_b32 s11, s10
	v_add_nc_u64_e32 v[10:11], 0, v[14:15]
	s_add_nc_u64 s[14:15], s[6:7], s[10:11]
	v_mov_b32_e32 v13, 0
	s_xor_b64 s[10:11], s[14:15], s[10:11]
	s_delay_alu instid0(SALU_CYCLE_1) | instskip(SKIP_3) | instid1(SALU_CYCLE_1)
	s_cvt_f32_u32 s2, s10
	s_cvt_f32_u32 s7, s11
	s_sub_nc_u64 s[16:17], 0, s[10:11]
	v_mov_b32_e32 v12, v10
	s_fmamk_f32 s2, s7, 0x4f800000, s2
	s_delay_alu instid0(SALU_CYCLE_3) | instskip(NEXT) | instid1(TRANS32_DEP_1)
	v_s_rcp_f32 s2, s2
	s_mul_f32 s2, s2, 0x5f7ffffc
	s_delay_alu instid0(SALU_CYCLE_3) | instskip(NEXT) | instid1(SALU_CYCLE_3)
	s_mul_f32 s7, s2, 0x2f800000
	s_trunc_f32 s7, s7
	s_delay_alu instid0(SALU_CYCLE_3) | instskip(SKIP_1) | instid1(SALU_CYCLE_2)
	s_fmamk_f32 s2, s7, 0xcf800000, s2
	s_cvt_u32_f32 s15, s7
	s_cvt_u32_f32 s14, s2
	s_delay_alu instid0(SALU_CYCLE_3) | instskip(NEXT) | instid1(SALU_CYCLE_1)
	s_mul_u64 s[18:19], s[16:17], s[14:15]
	s_mul_hi_u32 s23, s14, s19
	s_mul_i32 s22, s14, s19
	s_mul_hi_u32 s20, s14, s18
	s_mul_i32 s7, s15, s18
	s_add_nc_u64 s[22:23], s[20:21], s[22:23]
	s_mul_hi_u32 s2, s15, s18
	s_mul_hi_u32 s13, s15, s19
	s_add_co_u32 s7, s22, s7
	s_add_co_ci_u32 s20, s23, s2
	s_mul_i32 s18, s15, s19
	s_add_co_ci_u32 s19, s13, 0
	s_delay_alu instid0(SALU_CYCLE_1) | instskip(NEXT) | instid1(SALU_CYCLE_1)
	s_add_nc_u64 s[18:19], s[20:21], s[18:19]
	s_add_co_u32 s14, s14, s18
	s_cselect_b32 s2, -1, 0
	s_delay_alu instid0(SALU_CYCLE_1) | instskip(SKIP_1) | instid1(SALU_CYCLE_1)
	s_cmp_lg_u32 s2, 0
	s_add_co_ci_u32 s15, s15, s19
	s_mul_u64 s[16:17], s[16:17], s[14:15]
	s_delay_alu instid0(SALU_CYCLE_1)
	s_mul_hi_u32 s19, s14, s17
	s_mul_i32 s18, s14, s17
	s_mul_hi_u32 s20, s14, s16
	s_mul_i32 s7, s15, s16
	s_add_nc_u64 s[18:19], s[20:21], s[18:19]
	s_mul_hi_u32 s2, s15, s16
	s_mul_hi_u32 s13, s15, s17
	s_add_co_u32 s7, s18, s7
	s_add_co_ci_u32 s20, s19, s2
	s_mul_i32 s16, s15, s17
	s_add_co_ci_u32 s17, s13, 0
	s_delay_alu instid0(SALU_CYCLE_1) | instskip(NEXT) | instid1(SALU_CYCLE_1)
	s_add_nc_u64 s[16:17], s[20:21], s[16:17]
	s_add_co_u32 s2, s14, s16
	s_cselect_b32 s7, -1, 0
	s_delay_alu instid0(SALU_CYCLE_1)
	s_cmp_lg_u32 s7, 0
	s_add_co_ci_u32 s20, s15, s17
	s_mov_b64 s[14:15], 0xffffffff
	v_mul_u64_e32 v[16:17], s[20:21], v[12:13]
	v_mul_hi_u32 v12, v10, s2
	s_and_b64 s[14:15], s[2:3], s[14:15]
	s_delay_alu instid0(VALU_DEP_1) | instskip(SKIP_1) | instid1(VALU_DEP_1)
	v_add_nc_u64_e32 v[16:17], v[12:13], v[16:17]
	v_mov_b32_e32 v12, v11
	v_mul_u64_e32 v[18:19], s[14:15], v[12:13]
	v_mul_u64_e32 v[20:21], s[20:21], v[12:13]
	s_delay_alu instid0(VALU_DEP_2) | instskip(NEXT) | instid1(VALU_DEP_3)
	v_add_co_u32 v1, vcc_lo, v16, v18
	v_add_co_ci_u32_e32 v12, vcc_lo, v17, v19, vcc_lo
	s_delay_alu instid0(VALU_DEP_3) | instskip(NEXT) | instid1(VALU_DEP_1)
	v_add_co_ci_u32_e32 v21, vcc_lo, 0, v21, vcc_lo
	v_add_nc_u64_e32 v[12:13], v[12:13], v[20:21]
	s_delay_alu instid0(VALU_DEP_1) | instskip(NEXT) | instid1(VALU_DEP_1)
	v_mul_u64_e32 v[12:13], s[10:11], v[12:13]
	v_sub_nc_u32_e32 v1, v11, v13
	s_delay_alu instid0(VALU_DEP_2) | instskip(NEXT) | instid1(VALU_DEP_1)
	v_sub_co_u32 v10, vcc_lo, v10, v12
	v_sub_co_ci_u32_e64 v11, null, v11, v13, vcc_lo
	s_delay_alu instid0(VALU_DEP_3) | instskip(NEXT) | instid1(VALU_DEP_3)
	v_subrev_co_ci_u32_e64 v1, null, s11, v1, vcc_lo
	v_sub_co_u32 v12, vcc_lo, v10, s10
	v_cmp_le_u32_e64 s2, s10, v10
	s_delay_alu instid0(VALU_DEP_3) | instskip(SKIP_1) | instid1(VALU_DEP_3)
	v_subrev_co_ci_u32_e64 v13, null, 0, v1, vcc_lo
	v_subrev_co_ci_u32_e64 v1, null, s11, v1, vcc_lo
	v_cndmask_b32_e64 v16, 0, -1, s2
	v_cmp_le_u32_e64 s2, s10, v12
	v_cmp_le_u32_e32 vcc_lo, s11, v11
	s_delay_alu instid0(VALU_DEP_2) | instskip(SKIP_3) | instid1(VALU_DEP_3)
	v_cndmask_b32_e64 v17, 0, -1, s2
	v_cmp_le_u32_e64 s2, s11, v13
	v_cndmask_b32_e64 v19, 0, -1, vcc_lo
	v_cmp_eq_u32_e32 vcc_lo, s11, v13
	v_cndmask_b32_e64 v18, 0, -1, s2
	v_cmp_eq_u32_e64 s2, s11, v11
	s_delay_alu instid0(VALU_DEP_1) | instskip(SKIP_1) | instid1(VALU_DEP_1)
	v_dual_cndmask_b32 v17, v18, v17, vcc_lo :: v_dual_cndmask_b32 v16, v19, v16, s2
	v_sub_co_u32 v18, vcc_lo, v12, s10
	v_subrev_co_ci_u32_e64 v1, null, 0, v1, vcc_lo
	s_delay_alu instid0(VALU_DEP_3) | instskip(NEXT) | instid1(VALU_DEP_2)
	v_cmp_ne_u32_e32 vcc_lo, 0, v17
	v_dual_cndmask_b32 v1, v13, v1 :: v_dual_cndmask_b32 v12, v12, v18
	v_cmp_ne_u32_e32 vcc_lo, 0, v16
	s_delay_alu instid0(VALU_DEP_2) | instskip(NEXT) | instid1(VALU_DEP_1)
	v_dual_cndmask_b32 v11, v11, v1 :: v_dual_cndmask_b32 v10, v10, v12
	v_sub_nc_u64_e64 v[16:17], v[10:11], 0
.LBB59_6:
	s_or_saveexec_b32 s7, s3
	s_load_b64 s[2:3], s[0:1], 0x78
	s_xor_b32 exec_lo, exec_lo, s7
	s_cbranch_execz .LBB59_8
; %bb.7:
	v_cvt_f32_u32_e32 v1, s6
	s_sub_co_i32 s10, 0, s6
	v_mov_b32_e32 v17, 0
	s_delay_alu instid0(VALU_DEP_2) | instskip(SKIP_1) | instid1(TRANS32_DEP_1)
	v_rcp_iflag_f32_e32 v1, v1
	v_nop
	v_mul_f32_e32 v1, 0x4f7ffffe, v1
	s_delay_alu instid0(VALU_DEP_1) | instskip(NEXT) | instid1(VALU_DEP_1)
	v_cvt_u32_f32_e32 v1, v1
	v_mul_lo_u32 v10, s10, v1
	s_delay_alu instid0(VALU_DEP_1) | instskip(NEXT) | instid1(VALU_DEP_1)
	v_mul_hi_u32 v10, v1, v10
	v_add_nc_u32_e32 v1, v1, v10
	s_delay_alu instid0(VALU_DEP_1) | instskip(NEXT) | instid1(VALU_DEP_1)
	v_mul_hi_u32 v1, v14, v1
	v_mul_lo_u32 v1, v1, s6
	s_delay_alu instid0(VALU_DEP_1) | instskip(NEXT) | instid1(VALU_DEP_1)
	v_sub_nc_u32_e32 v1, v14, v1
	v_subrev_nc_u32_e32 v10, s6, v1
	v_cmp_le_u32_e32 vcc_lo, s6, v1
	s_delay_alu instid0(VALU_DEP_2) | instskip(NEXT) | instid1(VALU_DEP_1)
	v_cndmask_b32_e32 v1, v1, v10, vcc_lo
	v_subrev_nc_u32_e32 v10, s6, v1
	v_cmp_le_u32_e32 vcc_lo, s6, v1
	s_delay_alu instid0(VALU_DEP_2)
	v_cndmask_b32_e32 v16, v1, v10, vcc_lo
.LBB59_8:
	s_or_b32 exec_lo, exec_lo, s7
	s_wait_kmcnt 0x0
	v_lshl_add_u64 v[10:11], v[14:15], 3, s[2:3]
	s_mov_b32 s13, 0
	global_load_b64 v[10:11], v[10:11], off
	s_wait_loadcnt 0x0
	v_sub_nc_u64_e64 v[10:11], v[10:11], s[12:13]
	s_delay_alu instid0(VALU_DEP_1)
	v_cmp_lt_i64_e32 vcc_lo, -1, v[10:11]
	s_and_b32 exec_lo, exec_lo, vcc_lo
	s_cbranch_execz .LBB59_30
; %bb.9:
	s_clause 0x1
	s_load_b128 s[12:15], s[0:1], 0x0
	s_load_b64 s[2:3], s[0:1], 0x48
	s_wait_kmcnt 0x0
	s_cmp_eq_u32 s14, 1
	s_cselect_b32 s6, -1, 0
	s_cmp_eq_u32 s12, 0x6f
	s_cselect_b32 s7, -1, 0
	s_cmp_lg_u32 s12, 0x6f
	s_cselect_b32 s10, -1, 0
	s_cmp_lg_u32 s14, 1
	s_cbranch_scc0 .LBB59_13
; %bb.10:
	v_mov_b64_e32 v[12:13], v[16:17]
	s_and_not1_b32 vcc_lo, exec_lo, s7
	s_cbranch_vccnz .LBB59_12
; %bb.11:
	v_mul_u64_e32 v[12:13], s[2:3], v[16:17]
.LBB59_12:
	s_cbranch_execz .LBB59_14
	s_branch .LBB59_17
.LBB59_13:
                                        ; implicit-def: $vgpr12_vgpr13
.LBB59_14:
	s_and_not1_b32 vcc_lo, exec_lo, s10
	s_cbranch_vccnz .LBB59_16
; %bb.15:
	v_mul_u64_e32 v[16:17], s[2:3], v[16:17]
.LBB59_16:
	s_delay_alu instid0(VALU_DEP_1)
	v_mov_b64_e32 v[12:13], v[16:17]
.LBB59_17:
	s_cmp_eq_u32 s15, 1
	s_cselect_b32 s10, -1, 0
	s_cmp_eq_u32 s13, 0x6f
	s_cselect_b32 s11, -1, 0
	s_cmp_lg_u32 s13, 0x6f
	s_cselect_b32 s12, -1, 0
	s_cmp_lg_u32 s15, 1
	s_cbranch_scc0 .LBB59_21
; %bb.18:
	v_mov_b64_e32 v[16:17], v[10:11]
	s_and_not1_b32 vcc_lo, exec_lo, s12
	s_cbranch_vccnz .LBB59_20
; %bb.19:
	v_mul_u64_e32 v[16:17], s[4:5], v[10:11]
.LBB59_20:
	s_cbranch_execz .LBB59_22
	s_branch .LBB59_25
.LBB59_21:
                                        ; implicit-def: $vgpr16_vgpr17
.LBB59_22:
	s_and_not1_b32 vcc_lo, exec_lo, s11
	s_cbranch_vccnz .LBB59_24
; %bb.23:
	v_mul_u64_e32 v[10:11], s[4:5], v[10:11]
.LBB59_24:
	s_delay_alu instid0(VALU_DEP_1)
	v_mov_b64_e32 v[16:17], v[10:11]
.LBB59_25:
	v_cmp_lt_i64_e64 s12, s[8:9], 1
	s_and_b32 vcc_lo, exec_lo, s12
	s_cbranch_vccnz .LBB59_28
; %bb.26:
	s_clause 0x1
	s_load_b64 s[12:13], s[0:1], 0x50
	s_load_b64 s[14:15], s[0:1], 0x40
	s_xor_b32 s6, s7, s6
	s_delay_alu instid0(SALU_CYCLE_1) | instskip(SKIP_3) | instid1(SALU_CYCLE_1)
	s_and_b32 s6, s6, exec_lo
	s_cselect_b32 s7, 0, s3
	s_cselect_b32 s6, 1, s2
	s_xor_b32 s2, s11, s10
	s_and_b32 s2, s2, exec_lo
	s_cselect_b32 s3, s5, 0
	s_cselect_b32 s2, s4, 1
	s_lshl_b64 s[4:5], s[6:7], 4
	s_lshl_b64 s[2:3], s[2:3], 4
	s_wait_kmcnt 0x0
	v_lshl_add_u64 v[10:11], v[16:17], 4, s[12:13]
	v_lshl_add_u64 v[18:19], v[12:13], 4, s[14:15]
	v_mov_b64_e32 v[12:13], 0
	s_delay_alu instid0(VALU_DEP_3) | instskip(NEXT) | instid1(VALU_DEP_3)
	v_add_nc_u64_e32 v[16:17], 8, v[10:11]
	v_add_nc_u64_e32 v[18:19], 8, v[18:19]
	v_mov_b64_e32 v[10:11], 0
.LBB59_27:                              ; =>This Inner Loop Header: Depth=1
	global_load_b128 v[20:23], v[16:17], off offset:-8
	global_load_b128 v[24:27], v[18:19], off offset:-8
	s_wait_xcnt 0x1
	v_add_nc_u64_e32 v[16:17], s[2:3], v[16:17]
	s_wait_xcnt 0x0
	v_add_nc_u64_e32 v[18:19], s[4:5], v[18:19]
	s_add_nc_u64 s[8:9], s[8:9], -1
	s_delay_alu instid0(SALU_CYCLE_1) | instskip(SKIP_3) | instid1(VALU_DEP_2)
	s_cmp_eq_u64 s[8:9], 0
	s_wait_loadcnt 0x0
	v_mul_f64_e64 v[28:29], v[22:23], -v[26:27]
	v_mul_f64_e32 v[22:23], v[22:23], v[24:25]
	v_fmac_f64_e32 v[28:29], v[24:25], v[20:21]
	s_delay_alu instid0(VALU_DEP_2) | instskip(NEXT) | instid1(VALU_DEP_2)
	v_fmac_f64_e32 v[22:23], v[26:27], v[20:21]
	v_add_f64_e32 v[10:11], v[10:11], v[28:29]
	s_delay_alu instid0(VALU_DEP_2)
	v_add_f64_e32 v[12:13], v[12:13], v[22:23]
	s_cbranch_scc0 .LBB59_27
	s_branch .LBB59_29
.LBB59_28:
	v_mov_b64_e32 v[12:13], 0
	v_mov_b64_e32 v[10:11], 0
.LBB59_29:
	s_load_b64 s[0:1], s[0:1], 0x70
	v_lshlrev_b32_e32 v0, 4, v0
	ds_store_b128 v0, v[10:13]
	s_wait_dscnt 0x0
	s_barrier_signal -1
	s_barrier_wait -1
	s_wait_kmcnt 0x0
	v_lshl_add_u64 v[18:19], v[14:15], 4, s[0:1]
	global_load_b128 v[10:13], v[18:19], off
	s_wait_loadcnt 0x0
	v_mul_f64_e64 v[20:21], v[8:9], -v[12:13]
	v_mul_f64_e32 v[8:9], v[8:9], v[10:11]
	ds_load_b128 v[14:17], v0
	s_wait_dscnt 0x0
	v_mul_f64_e64 v[0:1], v[16:17], -v[4:5]
	v_mul_f64_e32 v[16:17], v[2:3], v[16:17]
	v_fmac_f64_e32 v[20:21], v[10:11], v[6:7]
	v_fmac_f64_e32 v[8:9], v[12:13], v[6:7]
	s_delay_alu instid0(VALU_DEP_4) | instskip(NEXT) | instid1(VALU_DEP_4)
	v_fmac_f64_e32 v[0:1], v[2:3], v[14:15]
	v_fmac_f64_e32 v[16:17], v[4:5], v[14:15]
	s_delay_alu instid0(VALU_DEP_2) | instskip(NEXT) | instid1(VALU_DEP_2)
	v_add_f64_e32 v[0:1], v[20:21], v[0:1]
	v_add_f64_e32 v[2:3], v[8:9], v[16:17]
	global_store_b128 v[18:19], v[0:3], off
.LBB59_30:
	s_endpgm
	.section	.rodata,"a",@progbits
	.p2align	6, 0x0
	.amdhsa_kernel _ZN9rocsparseL16sddmm_ell_kernelILi512ELi1E21rocsparse_complex_numIdEllS2_S2_S2_EEv20rocsparse_operation_S3_16rocsparse_order_S4_T3_S5_S5_T2_NS_24const_host_device_scalarIT1_EEPKT4_lPKT5_lS9_PT6_PKS5_21rocsparse_index_base_b
		.amdhsa_group_segment_fixed_size 8192
		.amdhsa_private_segment_fixed_size 0
		.amdhsa_kernarg_size 136
		.amdhsa_user_sgpr_count 2
		.amdhsa_user_sgpr_dispatch_ptr 0
		.amdhsa_user_sgpr_queue_ptr 0
		.amdhsa_user_sgpr_kernarg_segment_ptr 1
		.amdhsa_user_sgpr_dispatch_id 0
		.amdhsa_user_sgpr_kernarg_preload_length 0
		.amdhsa_user_sgpr_kernarg_preload_offset 0
		.amdhsa_user_sgpr_private_segment_size 0
		.amdhsa_wavefront_size32 1
		.amdhsa_uses_dynamic_stack 0
		.amdhsa_enable_private_segment 0
		.amdhsa_system_sgpr_workgroup_id_x 1
		.amdhsa_system_sgpr_workgroup_id_y 0
		.amdhsa_system_sgpr_workgroup_id_z 0
		.amdhsa_system_sgpr_workgroup_info 0
		.amdhsa_system_vgpr_workitem_id 0
		.amdhsa_next_free_vgpr 30
		.amdhsa_next_free_sgpr 24
		.amdhsa_named_barrier_count 0
		.amdhsa_reserve_vcc 1
		.amdhsa_float_round_mode_32 0
		.amdhsa_float_round_mode_16_64 0
		.amdhsa_float_denorm_mode_32 3
		.amdhsa_float_denorm_mode_16_64 3
		.amdhsa_fp16_overflow 0
		.amdhsa_memory_ordered 1
		.amdhsa_forward_progress 1
		.amdhsa_inst_pref_size 13
		.amdhsa_round_robin_scheduling 0
		.amdhsa_exception_fp_ieee_invalid_op 0
		.amdhsa_exception_fp_denorm_src 0
		.amdhsa_exception_fp_ieee_div_zero 0
		.amdhsa_exception_fp_ieee_overflow 0
		.amdhsa_exception_fp_ieee_underflow 0
		.amdhsa_exception_fp_ieee_inexact 0
		.amdhsa_exception_int_div_zero 0
	.end_amdhsa_kernel
	.section	.text._ZN9rocsparseL16sddmm_ell_kernelILi512ELi1E21rocsparse_complex_numIdEllS2_S2_S2_EEv20rocsparse_operation_S3_16rocsparse_order_S4_T3_S5_S5_T2_NS_24const_host_device_scalarIT1_EEPKT4_lPKT5_lS9_PT6_PKS5_21rocsparse_index_base_b,"axG",@progbits,_ZN9rocsparseL16sddmm_ell_kernelILi512ELi1E21rocsparse_complex_numIdEllS2_S2_S2_EEv20rocsparse_operation_S3_16rocsparse_order_S4_T3_S5_S5_T2_NS_24const_host_device_scalarIT1_EEPKT4_lPKT5_lS9_PT6_PKS5_21rocsparse_index_base_b,comdat
.Lfunc_end59:
	.size	_ZN9rocsparseL16sddmm_ell_kernelILi512ELi1E21rocsparse_complex_numIdEllS2_S2_S2_EEv20rocsparse_operation_S3_16rocsparse_order_S4_T3_S5_S5_T2_NS_24const_host_device_scalarIT1_EEPKT4_lPKT5_lS9_PT6_PKS5_21rocsparse_index_base_b, .Lfunc_end59-_ZN9rocsparseL16sddmm_ell_kernelILi512ELi1E21rocsparse_complex_numIdEllS2_S2_S2_EEv20rocsparse_operation_S3_16rocsparse_order_S4_T3_S5_S5_T2_NS_24const_host_device_scalarIT1_EEPKT4_lPKT5_lS9_PT6_PKS5_21rocsparse_index_base_b
                                        ; -- End function
	.set _ZN9rocsparseL16sddmm_ell_kernelILi512ELi1E21rocsparse_complex_numIdEllS2_S2_S2_EEv20rocsparse_operation_S3_16rocsparse_order_S4_T3_S5_S5_T2_NS_24const_host_device_scalarIT1_EEPKT4_lPKT5_lS9_PT6_PKS5_21rocsparse_index_base_b.num_vgpr, 30
	.set _ZN9rocsparseL16sddmm_ell_kernelILi512ELi1E21rocsparse_complex_numIdEllS2_S2_S2_EEv20rocsparse_operation_S3_16rocsparse_order_S4_T3_S5_S5_T2_NS_24const_host_device_scalarIT1_EEPKT4_lPKT5_lS9_PT6_PKS5_21rocsparse_index_base_b.num_agpr, 0
	.set _ZN9rocsparseL16sddmm_ell_kernelILi512ELi1E21rocsparse_complex_numIdEllS2_S2_S2_EEv20rocsparse_operation_S3_16rocsparse_order_S4_T3_S5_S5_T2_NS_24const_host_device_scalarIT1_EEPKT4_lPKT5_lS9_PT6_PKS5_21rocsparse_index_base_b.numbered_sgpr, 24
	.set _ZN9rocsparseL16sddmm_ell_kernelILi512ELi1E21rocsparse_complex_numIdEllS2_S2_S2_EEv20rocsparse_operation_S3_16rocsparse_order_S4_T3_S5_S5_T2_NS_24const_host_device_scalarIT1_EEPKT4_lPKT5_lS9_PT6_PKS5_21rocsparse_index_base_b.num_named_barrier, 0
	.set _ZN9rocsparseL16sddmm_ell_kernelILi512ELi1E21rocsparse_complex_numIdEllS2_S2_S2_EEv20rocsparse_operation_S3_16rocsparse_order_S4_T3_S5_S5_T2_NS_24const_host_device_scalarIT1_EEPKT4_lPKT5_lS9_PT6_PKS5_21rocsparse_index_base_b.private_seg_size, 0
	.set _ZN9rocsparseL16sddmm_ell_kernelILi512ELi1E21rocsparse_complex_numIdEllS2_S2_S2_EEv20rocsparse_operation_S3_16rocsparse_order_S4_T3_S5_S5_T2_NS_24const_host_device_scalarIT1_EEPKT4_lPKT5_lS9_PT6_PKS5_21rocsparse_index_base_b.uses_vcc, 1
	.set _ZN9rocsparseL16sddmm_ell_kernelILi512ELi1E21rocsparse_complex_numIdEllS2_S2_S2_EEv20rocsparse_operation_S3_16rocsparse_order_S4_T3_S5_S5_T2_NS_24const_host_device_scalarIT1_EEPKT4_lPKT5_lS9_PT6_PKS5_21rocsparse_index_base_b.uses_flat_scratch, 0
	.set _ZN9rocsparseL16sddmm_ell_kernelILi512ELi1E21rocsparse_complex_numIdEllS2_S2_S2_EEv20rocsparse_operation_S3_16rocsparse_order_S4_T3_S5_S5_T2_NS_24const_host_device_scalarIT1_EEPKT4_lPKT5_lS9_PT6_PKS5_21rocsparse_index_base_b.has_dyn_sized_stack, 0
	.set _ZN9rocsparseL16sddmm_ell_kernelILi512ELi1E21rocsparse_complex_numIdEllS2_S2_S2_EEv20rocsparse_operation_S3_16rocsparse_order_S4_T3_S5_S5_T2_NS_24const_host_device_scalarIT1_EEPKT4_lPKT5_lS9_PT6_PKS5_21rocsparse_index_base_b.has_recursion, 0
	.set _ZN9rocsparseL16sddmm_ell_kernelILi512ELi1E21rocsparse_complex_numIdEllS2_S2_S2_EEv20rocsparse_operation_S3_16rocsparse_order_S4_T3_S5_S5_T2_NS_24const_host_device_scalarIT1_EEPKT4_lPKT5_lS9_PT6_PKS5_21rocsparse_index_base_b.has_indirect_call, 0
	.section	.AMDGPU.csdata,"",@progbits
; Kernel info:
; codeLenInByte = 1636
; TotalNumSgprs: 26
; NumVgprs: 30
; ScratchSize: 0
; MemoryBound: 0
; FloatMode: 240
; IeeeMode: 1
; LDSByteSize: 8192 bytes/workgroup (compile time only)
; SGPRBlocks: 0
; VGPRBlocks: 1
; NumSGPRsForWavesPerEU: 26
; NumVGPRsForWavesPerEU: 30
; NamedBarCnt: 0
; Occupancy: 16
; WaveLimiterHint : 1
; COMPUTE_PGM_RSRC2:SCRATCH_EN: 0
; COMPUTE_PGM_RSRC2:USER_SGPR: 2
; COMPUTE_PGM_RSRC2:TRAP_HANDLER: 0
; COMPUTE_PGM_RSRC2:TGID_X_EN: 1
; COMPUTE_PGM_RSRC2:TGID_Y_EN: 0
; COMPUTE_PGM_RSRC2:TGID_Z_EN: 0
; COMPUTE_PGM_RSRC2:TIDIG_COMP_CNT: 0
	.section	.text._ZN9rocsparseL16sddmm_ell_kernelILi512ELi8EfiiDF16_DF16_fEEv20rocsparse_operation_S1_16rocsparse_order_S2_T3_S3_S3_T2_NS_24const_host_device_scalarIT1_EEPKT4_lPKT5_lS7_PT6_PKS3_21rocsparse_index_base_b,"axG",@progbits,_ZN9rocsparseL16sddmm_ell_kernelILi512ELi8EfiiDF16_DF16_fEEv20rocsparse_operation_S1_16rocsparse_order_S2_T3_S3_S3_T2_NS_24const_host_device_scalarIT1_EEPKT4_lPKT5_lS7_PT6_PKS3_21rocsparse_index_base_b,comdat
	.globl	_ZN9rocsparseL16sddmm_ell_kernelILi512ELi8EfiiDF16_DF16_fEEv20rocsparse_operation_S1_16rocsparse_order_S2_T3_S3_S3_T2_NS_24const_host_device_scalarIT1_EEPKT4_lPKT5_lS7_PT6_PKS3_21rocsparse_index_base_b ; -- Begin function _ZN9rocsparseL16sddmm_ell_kernelILi512ELi8EfiiDF16_DF16_fEEv20rocsparse_operation_S1_16rocsparse_order_S2_T3_S3_S3_T2_NS_24const_host_device_scalarIT1_EEPKT4_lPKT5_lS7_PT6_PKS3_21rocsparse_index_base_b
	.p2align	8
	.type	_ZN9rocsparseL16sddmm_ell_kernelILi512ELi8EfiiDF16_DF16_fEEv20rocsparse_operation_S1_16rocsparse_order_S2_T3_S3_S3_T2_NS_24const_host_device_scalarIT1_EEPKT4_lPKT5_lS7_PT6_PKS3_21rocsparse_index_base_b,@function
_ZN9rocsparseL16sddmm_ell_kernelILi512ELi8EfiiDF16_DF16_fEEv20rocsparse_operation_S1_16rocsparse_order_S2_T3_S3_S3_T2_NS_24const_host_device_scalarIT1_EEPKT4_lPKT5_lS7_PT6_PKS3_21rocsparse_index_base_b: ; @_ZN9rocsparseL16sddmm_ell_kernelILi512ELi8EfiiDF16_DF16_fEEv20rocsparse_operation_S1_16rocsparse_order_S2_T3_S3_S3_T2_NS_24const_host_device_scalarIT1_EEPKT4_lPKT5_lS7_PT6_PKS3_21rocsparse_index_base_b
; %bb.0:
	s_clause 0x2
	s_load_b64 s[8:9], s[0:1], 0x60
	s_load_b64 s[2:3], s[0:1], 0x20
	s_load_b128 s[4:7], s[0:1], 0x40
	s_wait_kmcnt 0x0
	s_bitcmp1_b32 s9, 0
	s_cselect_b32 s9, -1, 0
	s_delay_alu instid0(SALU_CYCLE_1)
	s_and_b32 vcc_lo, exec_lo, s9
	s_xor_b32 s9, s9, -1
	s_cbranch_vccnz .LBB60_2
; %bb.1:
	s_load_b32 s2, s[2:3], 0x0
.LBB60_2:
	s_and_not1_b32 vcc_lo, exec_lo, s9
	s_cbranch_vccnz .LBB60_4
; %bb.3:
	s_load_b32 s6, s[6:7], 0x0
.LBB60_4:
	s_wait_kmcnt 0x0
	s_cmp_eq_f32 s2, 0
	s_cselect_b32 s3, -1, 0
	s_cmp_eq_f32 s6, 1.0
	s_cselect_b32 s7, -1, 0
	s_delay_alu instid0(SALU_CYCLE_1) | instskip(NEXT) | instid1(SALU_CYCLE_1)
	s_and_b32 s3, s3, s7
	s_and_b32 vcc_lo, exec_lo, s3
	s_cbranch_vccnz .LBB60_35
; %bb.5:
	s_load_b64 s[12:13], s[0:1], 0x18
	s_bfe_u32 s3, ttmp6, 0x4000c
	s_and_b32 s7, ttmp6, 15
	s_add_co_i32 s3, s3, 1
	s_getreg_b32 s9, hwreg(HW_REG_IB_STS2, 6, 4)
	s_mul_i32 s3, ttmp9, s3
	v_lshrrev_b32_e32 v10, 3, v0
	s_add_co_i32 s7, s7, s3
	s_cmp_eq_u32 s9, 0
	s_cselect_b32 s3, ttmp9, s7
	s_delay_alu instid0(VALU_DEP_1) | instid1(SALU_CYCLE_1)
	v_lshl_or_b32 v2, s3, 6, v10
	s_mov_b32 s3, exec_lo
	s_wait_kmcnt 0x0
	s_delay_alu instid0(VALU_DEP_1)
	v_cmpx_gt_i32_e64 s13, v2
	s_cbranch_execz .LBB60_35
; %bb.6:
	s_load_b64 s[10:11], s[0:1], 0x58
	s_mov_b32 s13, -1
	s_wait_kmcnt 0x0
	global_load_b32 v1, v2, s[10:11] scale_offset
	s_wait_loadcnt 0x0
	v_subrev_nc_u32_e32 v4, s8, v1
	s_delay_alu instid0(VALU_DEP_1)
	v_cmp_lt_i32_e32 vcc_lo, -1, v4
	s_and_b32 exec_lo, exec_lo, vcc_lo
	s_cbranch_execz .LBB60_35
; %bb.7:
	s_clause 0x1
	s_load_b128 s[8:11], s[0:1], 0x0
	s_load_b32 s14, s[0:1], 0x10
                                        ; implicit-def: $vgpr6_vgpr7
	s_wait_kmcnt 0x0
	s_cmp_eq_u32 s10, 1
	s_cselect_b32 s3, -1, 0
	s_cmp_eq_u32 s8, 0x6f
	s_cselect_b32 s7, -1, 0
	s_cmp_lg_u32 s8, 0x6f
	s_cselect_b32 s8, -1, 0
	s_abs_i32 s16, s14
	s_delay_alu instid0(SALU_CYCLE_1) | instskip(SKIP_1) | instid1(SALU_CYCLE_2)
	s_cvt_f32_u32 s14, s16
	s_sub_co_i32 s15, 0, s16
	v_rcp_iflag_f32_e32 v1, s14
	v_nop
	s_delay_alu instid0(TRANS32_DEP_1) | instskip(SKIP_2) | instid1(VALU_DEP_1)
	v_readfirstlane_b32 s14, v1
	v_sub_nc_u32_e32 v1, 0, v2
	s_mul_f32 s14, s14, 0x4f7ffffe
	v_max_i32_e32 v1, v2, v1
	s_delay_alu instid0(SALU_CYCLE_2) | instskip(NEXT) | instid1(SALU_CYCLE_3)
	s_cvt_u32_f32 s14, s14
	s_mul_i32 s15, s15, s14
	s_delay_alu instid0(SALU_CYCLE_1) | instskip(NEXT) | instid1(SALU_CYCLE_1)
	s_mul_hi_u32 s15, s14, s15
	s_add_co_i32 s14, s14, s15
	s_cmp_lg_u32 s10, 1
	v_mul_hi_u32 v3, v1, s14
	s_load_b64 s[14:15], s[0:1], 0x30
	s_delay_alu instid0(VALU_DEP_1) | instskip(NEXT) | instid1(VALU_DEP_1)
	v_mul_lo_u32 v3, v3, s16
	v_sub_nc_u32_e32 v1, v1, v3
	s_delay_alu instid0(VALU_DEP_1) | instskip(SKIP_1) | instid1(VALU_DEP_2)
	v_subrev_nc_u32_e32 v3, s16, v1
	v_cmp_le_u32_e32 vcc_lo, s16, v1
	v_dual_cndmask_b32 v1, v1, v3, vcc_lo :: v_dual_ashrrev_i32 v3, 31, v2
	s_delay_alu instid0(VALU_DEP_1) | instskip(SKIP_1) | instid1(VALU_DEP_2)
	v_subrev_nc_u32_e32 v5, s16, v1
	v_cmp_le_u32_e32 vcc_lo, s16, v1
	v_cndmask_b32_e32 v1, v1, v5, vcc_lo
	s_delay_alu instid0(VALU_DEP_1) | instskip(NEXT) | instid1(VALU_DEP_1)
	v_xor_b32_e32 v1, v1, v3
	v_sub_nc_u32_e32 v8, v1, v3
	s_delay_alu instid0(VALU_DEP_1)
	v_ashrrev_i32_e32 v9, 31, v8
	s_cbranch_scc0 .LBB60_11
; %bb.8:
	s_delay_alu instid0(VALU_DEP_1)
	v_mov_b64_e32 v[6:7], v[8:9]
	s_and_not1_b32 vcc_lo, exec_lo, s7
	s_cbranch_vccnz .LBB60_10
; %bb.9:
	s_wait_kmcnt 0x0
	v_mul_u64_e32 v[6:7], s[14:15], v[8:9]
.LBB60_10:
	s_mov_b32 s13, 0
.LBB60_11:
	s_delay_alu instid0(SALU_CYCLE_1)
	s_and_not1_b32 vcc_lo, exec_lo, s13
	s_cbranch_vccnz .LBB60_15
; %bb.12:
	s_and_not1_b32 vcc_lo, exec_lo, s8
	s_cbranch_vccnz .LBB60_14
; %bb.13:
	s_wait_kmcnt 0x0
	v_mul_u64_e32 v[8:9], s[14:15], v[8:9]
.LBB60_14:
	s_delay_alu instid0(VALU_DEP_1)
	v_mov_b64_e32 v[6:7], v[8:9]
.LBB60_15:
	s_cmp_eq_u32 s11, 1
	v_mov_b32_e32 v5, 0
	s_cselect_b32 s8, -1, 0
	s_cmp_eq_u32 s9, 0x6f
	s_cselect_b32 s13, -1, 0
	s_cmp_lg_u32 s9, 0x6f
	s_cselect_b32 s9, -1, 0
	s_cmp_lg_u32 s11, 1
	s_cbranch_scc0 .LBB60_19
; %bb.16:
	v_mov_b64_e32 v[8:9], v[4:5]
	s_and_not1_b32 vcc_lo, exec_lo, s9
	s_cbranch_vccnz .LBB60_18
; %bb.17:
	v_mul_u64_e32 v[8:9], s[4:5], v[4:5]
.LBB60_18:
	s_cbranch_execz .LBB60_20
	s_branch .LBB60_23
.LBB60_19:
                                        ; implicit-def: $vgpr8_vgpr9
.LBB60_20:
	s_and_not1_b32 vcc_lo, exec_lo, s13
	s_cbranch_vccnz .LBB60_22
; %bb.21:
	v_mul_u64_e32 v[4:5], s[4:5], v[4:5]
.LBB60_22:
	s_delay_alu instid0(VALU_DEP_1)
	v_mov_b64_e32 v[8:9], v[4:5]
.LBB60_23:
	v_dual_mov_b32 v1, 0 :: v_dual_bitop2_b32 v11, 7, v0 bitop3:0x40
	s_mov_b32 s10, exec_lo
	s_delay_alu instid0(VALU_DEP_1)
	v_cmpx_gt_i32_e64 s12, v11
	s_cbranch_execz .LBB60_27
; %bb.24:
	s_xor_b32 s3, s7, s3
	v_dual_mov_b32 v1, 0 :: v_dual_bitop2_b32 v0, 7, v0 bitop3:0x40
	s_and_b32 s3, s3, exec_lo
	s_wait_kmcnt 0x0
	s_cselect_b32 s15, 0, s15
	s_cselect_b32 s14, 1, s14
	s_xor_b32 s3, s13, s8
	v_mul_u64_e32 v[4:5], s[14:15], v[0:1]
	s_and_b32 s3, s3, exec_lo
	s_cselect_b32 s9, s5, 0
	s_cselect_b32 s8, s4, 1
	s_clause 0x1
	s_load_b64 s[4:5], s[0:1], 0x28
	s_load_b64 s[16:17], s[0:1], 0x38
	v_mul_u64_e32 v[12:13], s[8:9], v[0:1]
	v_lshlrev_b64_e32 v[6:7], 1, v[6:7]
	v_lshlrev_b64_e32 v[8:9], 1, v[8:9]
	v_mov_b32_e32 v0, v11
	s_mov_b32 s3, 0
	s_lshl_b64 s[8:9], s[8:9], 4
	s_delay_alu instid0(VALU_DEP_3) | instskip(NEXT) | instid1(VALU_DEP_3)
	v_lshl_add_u64 v[4:5], v[4:5], 1, v[6:7]
	v_lshl_add_u64 v[6:7], v[12:13], 1, v[8:9]
	s_wait_kmcnt 0x0
	s_delay_alu instid0(VALU_DEP_2) | instskip(SKIP_1) | instid1(VALU_DEP_2)
	v_add_nc_u64_e32 v[4:5], s[4:5], v[4:5]
	s_lshl_b64 s[4:5], s[14:15], 4
	v_add_nc_u64_e32 v[6:7], s[16:17], v[6:7]
.LBB60_25:                              ; =>This Inner Loop Header: Depth=1
	global_load_u16 v8, v[4:5], off
	global_load_u16 v9, v[6:7], off
	v_add_nc_u32_e32 v0, 8, v0
	s_wait_xcnt 0x1
	v_add_nc_u64_e32 v[4:5], s[4:5], v[4:5]
	s_wait_xcnt 0x0
	v_add_nc_u64_e32 v[6:7], s[8:9], v[6:7]
	v_cmp_le_i32_e32 vcc_lo, s12, v0
	s_or_b32 s3, vcc_lo, s3
	s_wait_loadcnt 0x0
	v_mul_f16_e32 v8, v8, v9
	s_delay_alu instid0(VALU_DEP_1) | instskip(NEXT) | instid1(VALU_DEP_1)
	v_cvt_f32_f16_e32 v8, v8
	v_add_f32_e32 v1, v1, v8
	s_and_not1_b32 exec_lo, exec_lo, s3
	s_cbranch_execnz .LBB60_25
; %bb.26:
	s_or_b32 exec_lo, exec_lo, s3
.LBB60_27:
	s_delay_alu instid0(SALU_CYCLE_1) | instskip(SKIP_4) | instid1(VALU_DEP_1)
	s_or_b32 exec_lo, exec_lo, s10
	s_wait_xcnt 0x0
	s_load_b64 s[0:1], s[0:1], 0x50
	v_lshlrev_b32_e32 v0, 5, v10
	s_mov_b32 s3, exec_lo
	v_lshl_or_b32 v4, v11, 2, v0
	ds_store_b32 v4, v1
	s_wait_dscnt 0x0
	s_barrier_signal -1
	s_barrier_wait -1
	v_cmpx_gt_u32_e32 4, v11
	s_cbranch_execz .LBB60_29
; %bb.28:
	ds_load_2addr_b32 v[6:7], v4 offset1:4
	s_wait_dscnt 0x0
	v_add_f32_e32 v1, v7, v6
	ds_store_b32 v4, v1
.LBB60_29:
	s_or_b32 exec_lo, exec_lo, s3
	s_delay_alu instid0(SALU_CYCLE_1)
	s_mov_b32 s3, exec_lo
	s_wait_dscnt 0x0
	s_barrier_signal -1
	s_barrier_wait -1
	v_cmpx_gt_u32_e32 2, v11
	s_cbranch_execz .LBB60_31
; %bb.30:
	ds_load_2addr_b32 v[6:7], v4 offset1:2
	s_wait_dscnt 0x0
	v_add_f32_e32 v1, v7, v6
	ds_store_b32 v4, v1
.LBB60_31:
	s_or_b32 exec_lo, exec_lo, s3
	v_cmp_eq_u32_e32 vcc_lo, 0, v11
	s_wait_dscnt 0x0
	s_barrier_signal -1
	s_barrier_wait -1
	s_and_saveexec_b32 s3, vcc_lo
	s_cbranch_execz .LBB60_33
; %bb.32:
	ds_load_2addr_b32 v[6:7], v4 offset1:1
	s_wait_dscnt 0x0
	v_add_f32_e32 v1, v7, v6
	ds_store_b32 v4, v1
.LBB60_33:
	s_or_b32 exec_lo, exec_lo, s3
	s_wait_dscnt 0x0
	s_barrier_signal -1
	s_barrier_wait -1
	s_and_b32 exec_lo, exec_lo, vcc_lo
	s_cbranch_execz .LBB60_35
; %bb.34:
	s_wait_kmcnt 0x0
	v_lshl_add_u64 v[2:3], v[2:3], 2, s[0:1]
	ds_load_b32 v5, v0
	v_dual_mov_b32 v0, s6 :: v_dual_mov_b32 v1, s2
	global_load_b32 v4, v[2:3], off
	s_wait_loadcnt_dscnt 0x0
	v_pk_mul_f32 v[0:1], v[0:1], v[4:5]
	s_delay_alu instid0(VALU_DEP_1)
	v_add_f32_e32 v0, v0, v1
	global_store_b32 v[2:3], v0, off
.LBB60_35:
	s_endpgm
	.section	.rodata,"a",@progbits
	.p2align	6, 0x0
	.amdhsa_kernel _ZN9rocsparseL16sddmm_ell_kernelILi512ELi8EfiiDF16_DF16_fEEv20rocsparse_operation_S1_16rocsparse_order_S2_T3_S3_S3_T2_NS_24const_host_device_scalarIT1_EEPKT4_lPKT5_lS7_PT6_PKS3_21rocsparse_index_base_b
		.amdhsa_group_segment_fixed_size 2048
		.amdhsa_private_segment_fixed_size 0
		.amdhsa_kernarg_size 104
		.amdhsa_user_sgpr_count 2
		.amdhsa_user_sgpr_dispatch_ptr 0
		.amdhsa_user_sgpr_queue_ptr 0
		.amdhsa_user_sgpr_kernarg_segment_ptr 1
		.amdhsa_user_sgpr_dispatch_id 0
		.amdhsa_user_sgpr_kernarg_preload_length 0
		.amdhsa_user_sgpr_kernarg_preload_offset 0
		.amdhsa_user_sgpr_private_segment_size 0
		.amdhsa_wavefront_size32 1
		.amdhsa_uses_dynamic_stack 0
		.amdhsa_enable_private_segment 0
		.amdhsa_system_sgpr_workgroup_id_x 1
		.amdhsa_system_sgpr_workgroup_id_y 0
		.amdhsa_system_sgpr_workgroup_id_z 0
		.amdhsa_system_sgpr_workgroup_info 0
		.amdhsa_system_vgpr_workitem_id 0
		.amdhsa_next_free_vgpr 14
		.amdhsa_next_free_sgpr 18
		.amdhsa_named_barrier_count 0
		.amdhsa_reserve_vcc 1
		.amdhsa_float_round_mode_32 0
		.amdhsa_float_round_mode_16_64 0
		.amdhsa_float_denorm_mode_32 3
		.amdhsa_float_denorm_mode_16_64 3
		.amdhsa_fp16_overflow 0
		.amdhsa_memory_ordered 1
		.amdhsa_forward_progress 1
		.amdhsa_inst_pref_size 10
		.amdhsa_round_robin_scheduling 0
		.amdhsa_exception_fp_ieee_invalid_op 0
		.amdhsa_exception_fp_denorm_src 0
		.amdhsa_exception_fp_ieee_div_zero 0
		.amdhsa_exception_fp_ieee_overflow 0
		.amdhsa_exception_fp_ieee_underflow 0
		.amdhsa_exception_fp_ieee_inexact 0
		.amdhsa_exception_int_div_zero 0
	.end_amdhsa_kernel
	.section	.text._ZN9rocsparseL16sddmm_ell_kernelILi512ELi8EfiiDF16_DF16_fEEv20rocsparse_operation_S1_16rocsparse_order_S2_T3_S3_S3_T2_NS_24const_host_device_scalarIT1_EEPKT4_lPKT5_lS7_PT6_PKS3_21rocsparse_index_base_b,"axG",@progbits,_ZN9rocsparseL16sddmm_ell_kernelILi512ELi8EfiiDF16_DF16_fEEv20rocsparse_operation_S1_16rocsparse_order_S2_T3_S3_S3_T2_NS_24const_host_device_scalarIT1_EEPKT4_lPKT5_lS7_PT6_PKS3_21rocsparse_index_base_b,comdat
.Lfunc_end60:
	.size	_ZN9rocsparseL16sddmm_ell_kernelILi512ELi8EfiiDF16_DF16_fEEv20rocsparse_operation_S1_16rocsparse_order_S2_T3_S3_S3_T2_NS_24const_host_device_scalarIT1_EEPKT4_lPKT5_lS7_PT6_PKS3_21rocsparse_index_base_b, .Lfunc_end60-_ZN9rocsparseL16sddmm_ell_kernelILi512ELi8EfiiDF16_DF16_fEEv20rocsparse_operation_S1_16rocsparse_order_S2_T3_S3_S3_T2_NS_24const_host_device_scalarIT1_EEPKT4_lPKT5_lS7_PT6_PKS3_21rocsparse_index_base_b
                                        ; -- End function
	.set _ZN9rocsparseL16sddmm_ell_kernelILi512ELi8EfiiDF16_DF16_fEEv20rocsparse_operation_S1_16rocsparse_order_S2_T3_S3_S3_T2_NS_24const_host_device_scalarIT1_EEPKT4_lPKT5_lS7_PT6_PKS3_21rocsparse_index_base_b.num_vgpr, 14
	.set _ZN9rocsparseL16sddmm_ell_kernelILi512ELi8EfiiDF16_DF16_fEEv20rocsparse_operation_S1_16rocsparse_order_S2_T3_S3_S3_T2_NS_24const_host_device_scalarIT1_EEPKT4_lPKT5_lS7_PT6_PKS3_21rocsparse_index_base_b.num_agpr, 0
	.set _ZN9rocsparseL16sddmm_ell_kernelILi512ELi8EfiiDF16_DF16_fEEv20rocsparse_operation_S1_16rocsparse_order_S2_T3_S3_S3_T2_NS_24const_host_device_scalarIT1_EEPKT4_lPKT5_lS7_PT6_PKS3_21rocsparse_index_base_b.numbered_sgpr, 18
	.set _ZN9rocsparseL16sddmm_ell_kernelILi512ELi8EfiiDF16_DF16_fEEv20rocsparse_operation_S1_16rocsparse_order_S2_T3_S3_S3_T2_NS_24const_host_device_scalarIT1_EEPKT4_lPKT5_lS7_PT6_PKS3_21rocsparse_index_base_b.num_named_barrier, 0
	.set _ZN9rocsparseL16sddmm_ell_kernelILi512ELi8EfiiDF16_DF16_fEEv20rocsparse_operation_S1_16rocsparse_order_S2_T3_S3_S3_T2_NS_24const_host_device_scalarIT1_EEPKT4_lPKT5_lS7_PT6_PKS3_21rocsparse_index_base_b.private_seg_size, 0
	.set _ZN9rocsparseL16sddmm_ell_kernelILi512ELi8EfiiDF16_DF16_fEEv20rocsparse_operation_S1_16rocsparse_order_S2_T3_S3_S3_T2_NS_24const_host_device_scalarIT1_EEPKT4_lPKT5_lS7_PT6_PKS3_21rocsparse_index_base_b.uses_vcc, 1
	.set _ZN9rocsparseL16sddmm_ell_kernelILi512ELi8EfiiDF16_DF16_fEEv20rocsparse_operation_S1_16rocsparse_order_S2_T3_S3_S3_T2_NS_24const_host_device_scalarIT1_EEPKT4_lPKT5_lS7_PT6_PKS3_21rocsparse_index_base_b.uses_flat_scratch, 0
	.set _ZN9rocsparseL16sddmm_ell_kernelILi512ELi8EfiiDF16_DF16_fEEv20rocsparse_operation_S1_16rocsparse_order_S2_T3_S3_S3_T2_NS_24const_host_device_scalarIT1_EEPKT4_lPKT5_lS7_PT6_PKS3_21rocsparse_index_base_b.has_dyn_sized_stack, 0
	.set _ZN9rocsparseL16sddmm_ell_kernelILi512ELi8EfiiDF16_DF16_fEEv20rocsparse_operation_S1_16rocsparse_order_S2_T3_S3_S3_T2_NS_24const_host_device_scalarIT1_EEPKT4_lPKT5_lS7_PT6_PKS3_21rocsparse_index_base_b.has_recursion, 0
	.set _ZN9rocsparseL16sddmm_ell_kernelILi512ELi8EfiiDF16_DF16_fEEv20rocsparse_operation_S1_16rocsparse_order_S2_T3_S3_S3_T2_NS_24const_host_device_scalarIT1_EEPKT4_lPKT5_lS7_PT6_PKS3_21rocsparse_index_base_b.has_indirect_call, 0
	.section	.AMDGPU.csdata,"",@progbits
; Kernel info:
; codeLenInByte = 1180
; TotalNumSgprs: 20
; NumVgprs: 14
; ScratchSize: 0
; MemoryBound: 0
; FloatMode: 240
; IeeeMode: 1
; LDSByteSize: 2048 bytes/workgroup (compile time only)
; SGPRBlocks: 0
; VGPRBlocks: 0
; NumSGPRsForWavesPerEU: 20
; NumVGPRsForWavesPerEU: 14
; NamedBarCnt: 0
; Occupancy: 16
; WaveLimiterHint : 0
; COMPUTE_PGM_RSRC2:SCRATCH_EN: 0
; COMPUTE_PGM_RSRC2:USER_SGPR: 2
; COMPUTE_PGM_RSRC2:TRAP_HANDLER: 0
; COMPUTE_PGM_RSRC2:TGID_X_EN: 1
; COMPUTE_PGM_RSRC2:TGID_Y_EN: 0
; COMPUTE_PGM_RSRC2:TGID_Z_EN: 0
; COMPUTE_PGM_RSRC2:TIDIG_COMP_CNT: 0
	.section	.text._ZN9rocsparseL16sddmm_ell_kernelILi512ELi4EfiiDF16_DF16_fEEv20rocsparse_operation_S1_16rocsparse_order_S2_T3_S3_S3_T2_NS_24const_host_device_scalarIT1_EEPKT4_lPKT5_lS7_PT6_PKS3_21rocsparse_index_base_b,"axG",@progbits,_ZN9rocsparseL16sddmm_ell_kernelILi512ELi4EfiiDF16_DF16_fEEv20rocsparse_operation_S1_16rocsparse_order_S2_T3_S3_S3_T2_NS_24const_host_device_scalarIT1_EEPKT4_lPKT5_lS7_PT6_PKS3_21rocsparse_index_base_b,comdat
	.globl	_ZN9rocsparseL16sddmm_ell_kernelILi512ELi4EfiiDF16_DF16_fEEv20rocsparse_operation_S1_16rocsparse_order_S2_T3_S3_S3_T2_NS_24const_host_device_scalarIT1_EEPKT4_lPKT5_lS7_PT6_PKS3_21rocsparse_index_base_b ; -- Begin function _ZN9rocsparseL16sddmm_ell_kernelILi512ELi4EfiiDF16_DF16_fEEv20rocsparse_operation_S1_16rocsparse_order_S2_T3_S3_S3_T2_NS_24const_host_device_scalarIT1_EEPKT4_lPKT5_lS7_PT6_PKS3_21rocsparse_index_base_b
	.p2align	8
	.type	_ZN9rocsparseL16sddmm_ell_kernelILi512ELi4EfiiDF16_DF16_fEEv20rocsparse_operation_S1_16rocsparse_order_S2_T3_S3_S3_T2_NS_24const_host_device_scalarIT1_EEPKT4_lPKT5_lS7_PT6_PKS3_21rocsparse_index_base_b,@function
_ZN9rocsparseL16sddmm_ell_kernelILi512ELi4EfiiDF16_DF16_fEEv20rocsparse_operation_S1_16rocsparse_order_S2_T3_S3_S3_T2_NS_24const_host_device_scalarIT1_EEPKT4_lPKT5_lS7_PT6_PKS3_21rocsparse_index_base_b: ; @_ZN9rocsparseL16sddmm_ell_kernelILi512ELi4EfiiDF16_DF16_fEEv20rocsparse_operation_S1_16rocsparse_order_S2_T3_S3_S3_T2_NS_24const_host_device_scalarIT1_EEPKT4_lPKT5_lS7_PT6_PKS3_21rocsparse_index_base_b
; %bb.0:
	s_clause 0x2
	s_load_b64 s[8:9], s[0:1], 0x60
	s_load_b64 s[2:3], s[0:1], 0x20
	s_load_b128 s[4:7], s[0:1], 0x40
	s_wait_kmcnt 0x0
	s_bitcmp1_b32 s9, 0
	s_cselect_b32 s9, -1, 0
	s_delay_alu instid0(SALU_CYCLE_1)
	s_and_b32 vcc_lo, exec_lo, s9
	s_xor_b32 s9, s9, -1
	s_cbranch_vccnz .LBB61_2
; %bb.1:
	s_load_b32 s2, s[2:3], 0x0
.LBB61_2:
	s_and_not1_b32 vcc_lo, exec_lo, s9
	s_cbranch_vccnz .LBB61_4
; %bb.3:
	s_load_b32 s6, s[6:7], 0x0
.LBB61_4:
	s_wait_kmcnt 0x0
	s_cmp_eq_f32 s2, 0
	s_cselect_b32 s3, -1, 0
	s_cmp_eq_f32 s6, 1.0
	s_cselect_b32 s7, -1, 0
	s_delay_alu instid0(SALU_CYCLE_1) | instskip(NEXT) | instid1(SALU_CYCLE_1)
	s_and_b32 s3, s3, s7
	s_and_b32 vcc_lo, exec_lo, s3
	s_cbranch_vccnz .LBB61_33
; %bb.5:
	s_load_b64 s[12:13], s[0:1], 0x18
	s_bfe_u32 s3, ttmp6, 0x4000c
	s_and_b32 s7, ttmp6, 15
	s_add_co_i32 s3, s3, 1
	s_getreg_b32 s9, hwreg(HW_REG_IB_STS2, 6, 4)
	s_mul_i32 s3, ttmp9, s3
	v_lshrrev_b32_e32 v10, 2, v0
	s_add_co_i32 s7, s7, s3
	s_cmp_eq_u32 s9, 0
	s_cselect_b32 s3, ttmp9, s7
	s_delay_alu instid0(VALU_DEP_1) | instid1(SALU_CYCLE_1)
	v_lshl_or_b32 v2, s3, 7, v10
	s_mov_b32 s3, exec_lo
	s_wait_kmcnt 0x0
	s_delay_alu instid0(VALU_DEP_1)
	v_cmpx_gt_i32_e64 s13, v2
	s_cbranch_execz .LBB61_33
; %bb.6:
	s_load_b64 s[10:11], s[0:1], 0x58
	s_mov_b32 s13, -1
	s_wait_kmcnt 0x0
	global_load_b32 v1, v2, s[10:11] scale_offset
	s_wait_loadcnt 0x0
	v_subrev_nc_u32_e32 v4, s8, v1
	s_delay_alu instid0(VALU_DEP_1)
	v_cmp_lt_i32_e32 vcc_lo, -1, v4
	s_and_b32 exec_lo, exec_lo, vcc_lo
	s_cbranch_execz .LBB61_33
; %bb.7:
	s_clause 0x1
	s_load_b128 s[8:11], s[0:1], 0x0
	s_load_b32 s14, s[0:1], 0x10
                                        ; implicit-def: $vgpr6_vgpr7
	s_wait_kmcnt 0x0
	s_cmp_eq_u32 s10, 1
	s_cselect_b32 s3, -1, 0
	s_cmp_eq_u32 s8, 0x6f
	s_cselect_b32 s7, -1, 0
	s_cmp_lg_u32 s8, 0x6f
	s_cselect_b32 s8, -1, 0
	s_abs_i32 s16, s14
	s_delay_alu instid0(SALU_CYCLE_1) | instskip(SKIP_1) | instid1(SALU_CYCLE_2)
	s_cvt_f32_u32 s14, s16
	s_sub_co_i32 s15, 0, s16
	v_rcp_iflag_f32_e32 v1, s14
	v_nop
	s_delay_alu instid0(TRANS32_DEP_1) | instskip(SKIP_2) | instid1(VALU_DEP_1)
	v_readfirstlane_b32 s14, v1
	v_sub_nc_u32_e32 v1, 0, v2
	s_mul_f32 s14, s14, 0x4f7ffffe
	v_max_i32_e32 v1, v2, v1
	s_delay_alu instid0(SALU_CYCLE_2) | instskip(NEXT) | instid1(SALU_CYCLE_3)
	s_cvt_u32_f32 s14, s14
	s_mul_i32 s15, s15, s14
	s_delay_alu instid0(SALU_CYCLE_1) | instskip(NEXT) | instid1(SALU_CYCLE_1)
	s_mul_hi_u32 s15, s14, s15
	s_add_co_i32 s14, s14, s15
	s_cmp_lg_u32 s10, 1
	v_mul_hi_u32 v3, v1, s14
	s_load_b64 s[14:15], s[0:1], 0x30
	s_delay_alu instid0(VALU_DEP_1) | instskip(NEXT) | instid1(VALU_DEP_1)
	v_mul_lo_u32 v3, v3, s16
	v_sub_nc_u32_e32 v1, v1, v3
	s_delay_alu instid0(VALU_DEP_1) | instskip(SKIP_1) | instid1(VALU_DEP_2)
	v_subrev_nc_u32_e32 v3, s16, v1
	v_cmp_le_u32_e32 vcc_lo, s16, v1
	v_dual_cndmask_b32 v1, v1, v3, vcc_lo :: v_dual_ashrrev_i32 v3, 31, v2
	s_delay_alu instid0(VALU_DEP_1) | instskip(SKIP_1) | instid1(VALU_DEP_2)
	v_subrev_nc_u32_e32 v5, s16, v1
	v_cmp_le_u32_e32 vcc_lo, s16, v1
	v_cndmask_b32_e32 v1, v1, v5, vcc_lo
	s_delay_alu instid0(VALU_DEP_1) | instskip(NEXT) | instid1(VALU_DEP_1)
	v_xor_b32_e32 v1, v1, v3
	v_sub_nc_u32_e32 v8, v1, v3
	s_delay_alu instid0(VALU_DEP_1)
	v_ashrrev_i32_e32 v9, 31, v8
	s_cbranch_scc0 .LBB61_11
; %bb.8:
	s_delay_alu instid0(VALU_DEP_1)
	v_mov_b64_e32 v[6:7], v[8:9]
	s_and_not1_b32 vcc_lo, exec_lo, s7
	s_cbranch_vccnz .LBB61_10
; %bb.9:
	s_wait_kmcnt 0x0
	v_mul_u64_e32 v[6:7], s[14:15], v[8:9]
.LBB61_10:
	s_mov_b32 s13, 0
.LBB61_11:
	s_delay_alu instid0(SALU_CYCLE_1)
	s_and_not1_b32 vcc_lo, exec_lo, s13
	s_cbranch_vccnz .LBB61_15
; %bb.12:
	s_and_not1_b32 vcc_lo, exec_lo, s8
	s_cbranch_vccnz .LBB61_14
; %bb.13:
	s_wait_kmcnt 0x0
	v_mul_u64_e32 v[8:9], s[14:15], v[8:9]
.LBB61_14:
	s_delay_alu instid0(VALU_DEP_1)
	v_mov_b64_e32 v[6:7], v[8:9]
.LBB61_15:
	s_cmp_eq_u32 s11, 1
	v_mov_b32_e32 v5, 0
	s_cselect_b32 s8, -1, 0
	s_cmp_eq_u32 s9, 0x6f
	s_cselect_b32 s13, -1, 0
	s_cmp_lg_u32 s9, 0x6f
	s_cselect_b32 s9, -1, 0
	s_cmp_lg_u32 s11, 1
	s_cbranch_scc0 .LBB61_19
; %bb.16:
	v_mov_b64_e32 v[8:9], v[4:5]
	s_and_not1_b32 vcc_lo, exec_lo, s9
	s_cbranch_vccnz .LBB61_18
; %bb.17:
	v_mul_u64_e32 v[8:9], s[4:5], v[4:5]
.LBB61_18:
	s_cbranch_execz .LBB61_20
	s_branch .LBB61_23
.LBB61_19:
                                        ; implicit-def: $vgpr8_vgpr9
.LBB61_20:
	s_and_not1_b32 vcc_lo, exec_lo, s13
	s_cbranch_vccnz .LBB61_22
; %bb.21:
	v_mul_u64_e32 v[4:5], s[4:5], v[4:5]
.LBB61_22:
	s_delay_alu instid0(VALU_DEP_1)
	v_mov_b64_e32 v[8:9], v[4:5]
.LBB61_23:
	v_dual_mov_b32 v1, 0 :: v_dual_bitop2_b32 v11, 3, v0 bitop3:0x40
	s_mov_b32 s10, exec_lo
	s_delay_alu instid0(VALU_DEP_1)
	v_cmpx_gt_i32_e64 s12, v11
	s_cbranch_execz .LBB61_27
; %bb.24:
	s_xor_b32 s3, s7, s3
	v_dual_mov_b32 v1, 0 :: v_dual_bitop2_b32 v0, 3, v0 bitop3:0x40
	s_and_b32 s3, s3, exec_lo
	s_wait_kmcnt 0x0
	s_cselect_b32 s15, 0, s15
	s_cselect_b32 s14, 1, s14
	s_xor_b32 s3, s13, s8
	v_mul_u64_e32 v[4:5], s[14:15], v[0:1]
	s_and_b32 s3, s3, exec_lo
	s_cselect_b32 s9, s5, 0
	s_cselect_b32 s8, s4, 1
	s_clause 0x1
	s_load_b64 s[4:5], s[0:1], 0x28
	s_load_b64 s[16:17], s[0:1], 0x38
	v_mul_u64_e32 v[12:13], s[8:9], v[0:1]
	v_lshlrev_b64_e32 v[6:7], 1, v[6:7]
	v_lshlrev_b64_e32 v[8:9], 1, v[8:9]
	v_mov_b32_e32 v0, v11
	s_mov_b32 s3, 0
	s_lshl_b64 s[8:9], s[8:9], 3
	s_delay_alu instid0(VALU_DEP_3) | instskip(NEXT) | instid1(VALU_DEP_3)
	v_lshl_add_u64 v[4:5], v[4:5], 1, v[6:7]
	v_lshl_add_u64 v[6:7], v[12:13], 1, v[8:9]
	s_wait_kmcnt 0x0
	s_delay_alu instid0(VALU_DEP_2) | instskip(SKIP_1) | instid1(VALU_DEP_2)
	v_add_nc_u64_e32 v[4:5], s[4:5], v[4:5]
	s_lshl_b64 s[4:5], s[14:15], 3
	v_add_nc_u64_e32 v[6:7], s[16:17], v[6:7]
.LBB61_25:                              ; =>This Inner Loop Header: Depth=1
	global_load_u16 v8, v[4:5], off
	global_load_u16 v9, v[6:7], off
	v_add_nc_u32_e32 v0, 4, v0
	s_wait_xcnt 0x1
	v_add_nc_u64_e32 v[4:5], s[4:5], v[4:5]
	s_wait_xcnt 0x0
	v_add_nc_u64_e32 v[6:7], s[8:9], v[6:7]
	v_cmp_le_i32_e32 vcc_lo, s12, v0
	s_or_b32 s3, vcc_lo, s3
	s_wait_loadcnt 0x0
	v_mul_f16_e32 v8, v8, v9
	s_delay_alu instid0(VALU_DEP_1) | instskip(NEXT) | instid1(VALU_DEP_1)
	v_cvt_f32_f16_e32 v8, v8
	v_add_f32_e32 v1, v1, v8
	s_and_not1_b32 exec_lo, exec_lo, s3
	s_cbranch_execnz .LBB61_25
; %bb.26:
	s_or_b32 exec_lo, exec_lo, s3
.LBB61_27:
	s_delay_alu instid0(SALU_CYCLE_1) | instskip(SKIP_4) | instid1(VALU_DEP_1)
	s_or_b32 exec_lo, exec_lo, s10
	s_wait_xcnt 0x0
	s_load_b64 s[0:1], s[0:1], 0x50
	v_lshlrev_b32_e32 v0, 4, v10
	s_mov_b32 s3, exec_lo
	v_lshl_or_b32 v4, v11, 2, v0
	ds_store_b32 v4, v1
	s_wait_dscnt 0x0
	s_barrier_signal -1
	s_barrier_wait -1
	v_cmpx_gt_u32_e32 2, v11
	s_cbranch_execz .LBB61_29
; %bb.28:
	ds_load_2addr_b32 v[6:7], v4 offset1:2
	s_wait_dscnt 0x0
	v_add_f32_e32 v1, v7, v6
	ds_store_b32 v4, v1
.LBB61_29:
	s_or_b32 exec_lo, exec_lo, s3
	v_cmp_eq_u32_e32 vcc_lo, 0, v11
	s_wait_dscnt 0x0
	s_barrier_signal -1
	s_barrier_wait -1
	s_and_saveexec_b32 s3, vcc_lo
	s_cbranch_execz .LBB61_31
; %bb.30:
	ds_load_2addr_b32 v[6:7], v4 offset1:1
	s_wait_dscnt 0x0
	v_add_f32_e32 v1, v7, v6
	ds_store_b32 v4, v1
.LBB61_31:
	s_or_b32 exec_lo, exec_lo, s3
	s_wait_dscnt 0x0
	s_barrier_signal -1
	s_barrier_wait -1
	s_and_b32 exec_lo, exec_lo, vcc_lo
	s_cbranch_execz .LBB61_33
; %bb.32:
	s_wait_kmcnt 0x0
	v_lshl_add_u64 v[2:3], v[2:3], 2, s[0:1]
	ds_load_b32 v5, v0
	v_dual_mov_b32 v0, s6 :: v_dual_mov_b32 v1, s2
	global_load_b32 v4, v[2:3], off
	s_wait_loadcnt_dscnt 0x0
	v_pk_mul_f32 v[0:1], v[0:1], v[4:5]
	s_delay_alu instid0(VALU_DEP_1)
	v_add_f32_e32 v0, v0, v1
	global_store_b32 v[2:3], v0, off
.LBB61_33:
	s_endpgm
	.section	.rodata,"a",@progbits
	.p2align	6, 0x0
	.amdhsa_kernel _ZN9rocsparseL16sddmm_ell_kernelILi512ELi4EfiiDF16_DF16_fEEv20rocsparse_operation_S1_16rocsparse_order_S2_T3_S3_S3_T2_NS_24const_host_device_scalarIT1_EEPKT4_lPKT5_lS7_PT6_PKS3_21rocsparse_index_base_b
		.amdhsa_group_segment_fixed_size 2048
		.amdhsa_private_segment_fixed_size 0
		.amdhsa_kernarg_size 104
		.amdhsa_user_sgpr_count 2
		.amdhsa_user_sgpr_dispatch_ptr 0
		.amdhsa_user_sgpr_queue_ptr 0
		.amdhsa_user_sgpr_kernarg_segment_ptr 1
		.amdhsa_user_sgpr_dispatch_id 0
		.amdhsa_user_sgpr_kernarg_preload_length 0
		.amdhsa_user_sgpr_kernarg_preload_offset 0
		.amdhsa_user_sgpr_private_segment_size 0
		.amdhsa_wavefront_size32 1
		.amdhsa_uses_dynamic_stack 0
		.amdhsa_enable_private_segment 0
		.amdhsa_system_sgpr_workgroup_id_x 1
		.amdhsa_system_sgpr_workgroup_id_y 0
		.amdhsa_system_sgpr_workgroup_id_z 0
		.amdhsa_system_sgpr_workgroup_info 0
		.amdhsa_system_vgpr_workitem_id 0
		.amdhsa_next_free_vgpr 14
		.amdhsa_next_free_sgpr 18
		.amdhsa_named_barrier_count 0
		.amdhsa_reserve_vcc 1
		.amdhsa_float_round_mode_32 0
		.amdhsa_float_round_mode_16_64 0
		.amdhsa_float_denorm_mode_32 3
		.amdhsa_float_denorm_mode_16_64 3
		.amdhsa_fp16_overflow 0
		.amdhsa_memory_ordered 1
		.amdhsa_forward_progress 1
		.amdhsa_inst_pref_size 9
		.amdhsa_round_robin_scheduling 0
		.amdhsa_exception_fp_ieee_invalid_op 0
		.amdhsa_exception_fp_denorm_src 0
		.amdhsa_exception_fp_ieee_div_zero 0
		.amdhsa_exception_fp_ieee_overflow 0
		.amdhsa_exception_fp_ieee_underflow 0
		.amdhsa_exception_fp_ieee_inexact 0
		.amdhsa_exception_int_div_zero 0
	.end_amdhsa_kernel
	.section	.text._ZN9rocsparseL16sddmm_ell_kernelILi512ELi4EfiiDF16_DF16_fEEv20rocsparse_operation_S1_16rocsparse_order_S2_T3_S3_S3_T2_NS_24const_host_device_scalarIT1_EEPKT4_lPKT5_lS7_PT6_PKS3_21rocsparse_index_base_b,"axG",@progbits,_ZN9rocsparseL16sddmm_ell_kernelILi512ELi4EfiiDF16_DF16_fEEv20rocsparse_operation_S1_16rocsparse_order_S2_T3_S3_S3_T2_NS_24const_host_device_scalarIT1_EEPKT4_lPKT5_lS7_PT6_PKS3_21rocsparse_index_base_b,comdat
.Lfunc_end61:
	.size	_ZN9rocsparseL16sddmm_ell_kernelILi512ELi4EfiiDF16_DF16_fEEv20rocsparse_operation_S1_16rocsparse_order_S2_T3_S3_S3_T2_NS_24const_host_device_scalarIT1_EEPKT4_lPKT5_lS7_PT6_PKS3_21rocsparse_index_base_b, .Lfunc_end61-_ZN9rocsparseL16sddmm_ell_kernelILi512ELi4EfiiDF16_DF16_fEEv20rocsparse_operation_S1_16rocsparse_order_S2_T3_S3_S3_T2_NS_24const_host_device_scalarIT1_EEPKT4_lPKT5_lS7_PT6_PKS3_21rocsparse_index_base_b
                                        ; -- End function
	.set _ZN9rocsparseL16sddmm_ell_kernelILi512ELi4EfiiDF16_DF16_fEEv20rocsparse_operation_S1_16rocsparse_order_S2_T3_S3_S3_T2_NS_24const_host_device_scalarIT1_EEPKT4_lPKT5_lS7_PT6_PKS3_21rocsparse_index_base_b.num_vgpr, 14
	.set _ZN9rocsparseL16sddmm_ell_kernelILi512ELi4EfiiDF16_DF16_fEEv20rocsparse_operation_S1_16rocsparse_order_S2_T3_S3_S3_T2_NS_24const_host_device_scalarIT1_EEPKT4_lPKT5_lS7_PT6_PKS3_21rocsparse_index_base_b.num_agpr, 0
	.set _ZN9rocsparseL16sddmm_ell_kernelILi512ELi4EfiiDF16_DF16_fEEv20rocsparse_operation_S1_16rocsparse_order_S2_T3_S3_S3_T2_NS_24const_host_device_scalarIT1_EEPKT4_lPKT5_lS7_PT6_PKS3_21rocsparse_index_base_b.numbered_sgpr, 18
	.set _ZN9rocsparseL16sddmm_ell_kernelILi512ELi4EfiiDF16_DF16_fEEv20rocsparse_operation_S1_16rocsparse_order_S2_T3_S3_S3_T2_NS_24const_host_device_scalarIT1_EEPKT4_lPKT5_lS7_PT6_PKS3_21rocsparse_index_base_b.num_named_barrier, 0
	.set _ZN9rocsparseL16sddmm_ell_kernelILi512ELi4EfiiDF16_DF16_fEEv20rocsparse_operation_S1_16rocsparse_order_S2_T3_S3_S3_T2_NS_24const_host_device_scalarIT1_EEPKT4_lPKT5_lS7_PT6_PKS3_21rocsparse_index_base_b.private_seg_size, 0
	.set _ZN9rocsparseL16sddmm_ell_kernelILi512ELi4EfiiDF16_DF16_fEEv20rocsparse_operation_S1_16rocsparse_order_S2_T3_S3_S3_T2_NS_24const_host_device_scalarIT1_EEPKT4_lPKT5_lS7_PT6_PKS3_21rocsparse_index_base_b.uses_vcc, 1
	.set _ZN9rocsparseL16sddmm_ell_kernelILi512ELi4EfiiDF16_DF16_fEEv20rocsparse_operation_S1_16rocsparse_order_S2_T3_S3_S3_T2_NS_24const_host_device_scalarIT1_EEPKT4_lPKT5_lS7_PT6_PKS3_21rocsparse_index_base_b.uses_flat_scratch, 0
	.set _ZN9rocsparseL16sddmm_ell_kernelILi512ELi4EfiiDF16_DF16_fEEv20rocsparse_operation_S1_16rocsparse_order_S2_T3_S3_S3_T2_NS_24const_host_device_scalarIT1_EEPKT4_lPKT5_lS7_PT6_PKS3_21rocsparse_index_base_b.has_dyn_sized_stack, 0
	.set _ZN9rocsparseL16sddmm_ell_kernelILi512ELi4EfiiDF16_DF16_fEEv20rocsparse_operation_S1_16rocsparse_order_S2_T3_S3_S3_T2_NS_24const_host_device_scalarIT1_EEPKT4_lPKT5_lS7_PT6_PKS3_21rocsparse_index_base_b.has_recursion, 0
	.set _ZN9rocsparseL16sddmm_ell_kernelILi512ELi4EfiiDF16_DF16_fEEv20rocsparse_operation_S1_16rocsparse_order_S2_T3_S3_S3_T2_NS_24const_host_device_scalarIT1_EEPKT4_lPKT5_lS7_PT6_PKS3_21rocsparse_index_base_b.has_indirect_call, 0
	.section	.AMDGPU.csdata,"",@progbits
; Kernel info:
; codeLenInByte = 1124
; TotalNumSgprs: 20
; NumVgprs: 14
; ScratchSize: 0
; MemoryBound: 0
; FloatMode: 240
; IeeeMode: 1
; LDSByteSize: 2048 bytes/workgroup (compile time only)
; SGPRBlocks: 0
; VGPRBlocks: 0
; NumSGPRsForWavesPerEU: 20
; NumVGPRsForWavesPerEU: 14
; NamedBarCnt: 0
; Occupancy: 16
; WaveLimiterHint : 0
; COMPUTE_PGM_RSRC2:SCRATCH_EN: 0
; COMPUTE_PGM_RSRC2:USER_SGPR: 2
; COMPUTE_PGM_RSRC2:TRAP_HANDLER: 0
; COMPUTE_PGM_RSRC2:TGID_X_EN: 1
; COMPUTE_PGM_RSRC2:TGID_Y_EN: 0
; COMPUTE_PGM_RSRC2:TGID_Z_EN: 0
; COMPUTE_PGM_RSRC2:TIDIG_COMP_CNT: 0
	.section	.text._ZN9rocsparseL16sddmm_ell_kernelILi512ELi2EfiiDF16_DF16_fEEv20rocsparse_operation_S1_16rocsparse_order_S2_T3_S3_S3_T2_NS_24const_host_device_scalarIT1_EEPKT4_lPKT5_lS7_PT6_PKS3_21rocsparse_index_base_b,"axG",@progbits,_ZN9rocsparseL16sddmm_ell_kernelILi512ELi2EfiiDF16_DF16_fEEv20rocsparse_operation_S1_16rocsparse_order_S2_T3_S3_S3_T2_NS_24const_host_device_scalarIT1_EEPKT4_lPKT5_lS7_PT6_PKS3_21rocsparse_index_base_b,comdat
	.globl	_ZN9rocsparseL16sddmm_ell_kernelILi512ELi2EfiiDF16_DF16_fEEv20rocsparse_operation_S1_16rocsparse_order_S2_T3_S3_S3_T2_NS_24const_host_device_scalarIT1_EEPKT4_lPKT5_lS7_PT6_PKS3_21rocsparse_index_base_b ; -- Begin function _ZN9rocsparseL16sddmm_ell_kernelILi512ELi2EfiiDF16_DF16_fEEv20rocsparse_operation_S1_16rocsparse_order_S2_T3_S3_S3_T2_NS_24const_host_device_scalarIT1_EEPKT4_lPKT5_lS7_PT6_PKS3_21rocsparse_index_base_b
	.p2align	8
	.type	_ZN9rocsparseL16sddmm_ell_kernelILi512ELi2EfiiDF16_DF16_fEEv20rocsparse_operation_S1_16rocsparse_order_S2_T3_S3_S3_T2_NS_24const_host_device_scalarIT1_EEPKT4_lPKT5_lS7_PT6_PKS3_21rocsparse_index_base_b,@function
_ZN9rocsparseL16sddmm_ell_kernelILi512ELi2EfiiDF16_DF16_fEEv20rocsparse_operation_S1_16rocsparse_order_S2_T3_S3_S3_T2_NS_24const_host_device_scalarIT1_EEPKT4_lPKT5_lS7_PT6_PKS3_21rocsparse_index_base_b: ; @_ZN9rocsparseL16sddmm_ell_kernelILi512ELi2EfiiDF16_DF16_fEEv20rocsparse_operation_S1_16rocsparse_order_S2_T3_S3_S3_T2_NS_24const_host_device_scalarIT1_EEPKT4_lPKT5_lS7_PT6_PKS3_21rocsparse_index_base_b
; %bb.0:
	s_clause 0x2
	s_load_b64 s[8:9], s[0:1], 0x60
	s_load_b64 s[2:3], s[0:1], 0x20
	s_load_b128 s[4:7], s[0:1], 0x40
	s_wait_kmcnt 0x0
	s_bitcmp1_b32 s9, 0
	s_cselect_b32 s9, -1, 0
	s_delay_alu instid0(SALU_CYCLE_1)
	s_and_b32 vcc_lo, exec_lo, s9
	s_xor_b32 s9, s9, -1
	s_cbranch_vccnz .LBB62_2
; %bb.1:
	s_load_b32 s2, s[2:3], 0x0
.LBB62_2:
	s_and_not1_b32 vcc_lo, exec_lo, s9
	s_cbranch_vccnz .LBB62_4
; %bb.3:
	s_load_b32 s6, s[6:7], 0x0
.LBB62_4:
	s_wait_kmcnt 0x0
	s_cmp_eq_f32 s2, 0
	s_cselect_b32 s3, -1, 0
	s_cmp_eq_f32 s6, 1.0
	s_cselect_b32 s7, -1, 0
	s_delay_alu instid0(SALU_CYCLE_1) | instskip(NEXT) | instid1(SALU_CYCLE_1)
	s_and_b32 s3, s3, s7
	s_and_b32 vcc_lo, exec_lo, s3
	s_cbranch_vccnz .LBB62_31
; %bb.5:
	s_load_b64 s[12:13], s[0:1], 0x18
	s_bfe_u32 s3, ttmp6, 0x4000c
	s_and_b32 s7, ttmp6, 15
	s_add_co_i32 s3, s3, 1
	s_getreg_b32 s9, hwreg(HW_REG_IB_STS2, 6, 4)
	s_mul_i32 s3, ttmp9, s3
	v_lshrrev_b32_e32 v10, 1, v0
	s_add_co_i32 s7, s7, s3
	s_cmp_eq_u32 s9, 0
	s_cselect_b32 s3, ttmp9, s7
	s_delay_alu instid0(VALU_DEP_1) | instid1(SALU_CYCLE_1)
	v_lshl_or_b32 v2, s3, 8, v10
	s_mov_b32 s3, exec_lo
	s_wait_kmcnt 0x0
	s_delay_alu instid0(VALU_DEP_1)
	v_cmpx_gt_i32_e64 s13, v2
	s_cbranch_execz .LBB62_31
; %bb.6:
	s_load_b64 s[10:11], s[0:1], 0x58
	s_mov_b32 s13, -1
	s_wait_kmcnt 0x0
	global_load_b32 v1, v2, s[10:11] scale_offset
	s_wait_loadcnt 0x0
	v_subrev_nc_u32_e32 v4, s8, v1
	s_delay_alu instid0(VALU_DEP_1)
	v_cmp_lt_i32_e32 vcc_lo, -1, v4
	s_and_b32 exec_lo, exec_lo, vcc_lo
	s_cbranch_execz .LBB62_31
; %bb.7:
	s_clause 0x1
	s_load_b128 s[8:11], s[0:1], 0x0
	s_load_b32 s14, s[0:1], 0x10
                                        ; implicit-def: $vgpr6_vgpr7
	s_wait_kmcnt 0x0
	s_cmp_eq_u32 s10, 1
	s_cselect_b32 s3, -1, 0
	s_cmp_eq_u32 s8, 0x6f
	s_cselect_b32 s7, -1, 0
	s_cmp_lg_u32 s8, 0x6f
	s_cselect_b32 s8, -1, 0
	s_abs_i32 s16, s14
	s_delay_alu instid0(SALU_CYCLE_1) | instskip(SKIP_1) | instid1(SALU_CYCLE_2)
	s_cvt_f32_u32 s14, s16
	s_sub_co_i32 s15, 0, s16
	v_rcp_iflag_f32_e32 v1, s14
	v_nop
	s_delay_alu instid0(TRANS32_DEP_1) | instskip(SKIP_2) | instid1(VALU_DEP_1)
	v_readfirstlane_b32 s14, v1
	v_sub_nc_u32_e32 v1, 0, v2
	s_mul_f32 s14, s14, 0x4f7ffffe
	v_max_i32_e32 v1, v2, v1
	s_delay_alu instid0(SALU_CYCLE_2) | instskip(NEXT) | instid1(SALU_CYCLE_3)
	s_cvt_u32_f32 s14, s14
	s_mul_i32 s15, s15, s14
	s_delay_alu instid0(SALU_CYCLE_1) | instskip(NEXT) | instid1(SALU_CYCLE_1)
	s_mul_hi_u32 s15, s14, s15
	s_add_co_i32 s14, s14, s15
	s_cmp_lg_u32 s10, 1
	v_mul_hi_u32 v3, v1, s14
	s_load_b64 s[14:15], s[0:1], 0x30
	s_delay_alu instid0(VALU_DEP_1) | instskip(NEXT) | instid1(VALU_DEP_1)
	v_mul_lo_u32 v3, v3, s16
	v_sub_nc_u32_e32 v1, v1, v3
	s_delay_alu instid0(VALU_DEP_1) | instskip(SKIP_1) | instid1(VALU_DEP_2)
	v_subrev_nc_u32_e32 v3, s16, v1
	v_cmp_le_u32_e32 vcc_lo, s16, v1
	v_dual_cndmask_b32 v1, v1, v3, vcc_lo :: v_dual_ashrrev_i32 v3, 31, v2
	s_delay_alu instid0(VALU_DEP_1) | instskip(SKIP_1) | instid1(VALU_DEP_2)
	v_subrev_nc_u32_e32 v5, s16, v1
	v_cmp_le_u32_e32 vcc_lo, s16, v1
	v_cndmask_b32_e32 v1, v1, v5, vcc_lo
	s_delay_alu instid0(VALU_DEP_1) | instskip(NEXT) | instid1(VALU_DEP_1)
	v_xor_b32_e32 v1, v1, v3
	v_sub_nc_u32_e32 v8, v1, v3
	s_delay_alu instid0(VALU_DEP_1)
	v_ashrrev_i32_e32 v9, 31, v8
	s_cbranch_scc0 .LBB62_11
; %bb.8:
	s_delay_alu instid0(VALU_DEP_1)
	v_mov_b64_e32 v[6:7], v[8:9]
	s_and_not1_b32 vcc_lo, exec_lo, s7
	s_cbranch_vccnz .LBB62_10
; %bb.9:
	s_wait_kmcnt 0x0
	v_mul_u64_e32 v[6:7], s[14:15], v[8:9]
.LBB62_10:
	s_mov_b32 s13, 0
.LBB62_11:
	s_delay_alu instid0(SALU_CYCLE_1)
	s_and_not1_b32 vcc_lo, exec_lo, s13
	s_cbranch_vccnz .LBB62_15
; %bb.12:
	s_and_not1_b32 vcc_lo, exec_lo, s8
	s_cbranch_vccnz .LBB62_14
; %bb.13:
	s_wait_kmcnt 0x0
	v_mul_u64_e32 v[8:9], s[14:15], v[8:9]
.LBB62_14:
	s_delay_alu instid0(VALU_DEP_1)
	v_mov_b64_e32 v[6:7], v[8:9]
.LBB62_15:
	s_cmp_eq_u32 s11, 1
	v_mov_b32_e32 v5, 0
	s_cselect_b32 s8, -1, 0
	s_cmp_eq_u32 s9, 0x6f
	s_cselect_b32 s13, -1, 0
	s_cmp_lg_u32 s9, 0x6f
	s_cselect_b32 s9, -1, 0
	s_cmp_lg_u32 s11, 1
	s_cbranch_scc0 .LBB62_19
; %bb.16:
	v_mov_b64_e32 v[8:9], v[4:5]
	s_and_not1_b32 vcc_lo, exec_lo, s9
	s_cbranch_vccnz .LBB62_18
; %bb.17:
	v_mul_u64_e32 v[8:9], s[4:5], v[4:5]
.LBB62_18:
	s_cbranch_execz .LBB62_20
	s_branch .LBB62_23
.LBB62_19:
                                        ; implicit-def: $vgpr8_vgpr9
.LBB62_20:
	s_and_not1_b32 vcc_lo, exec_lo, s13
	s_cbranch_vccnz .LBB62_22
; %bb.21:
	v_mul_u64_e32 v[4:5], s[4:5], v[4:5]
.LBB62_22:
	s_delay_alu instid0(VALU_DEP_1)
	v_mov_b64_e32 v[8:9], v[4:5]
.LBB62_23:
	v_dual_mov_b32 v1, 0 :: v_dual_bitop2_b32 v11, 1, v0 bitop3:0x40
	s_mov_b32 s10, exec_lo
	s_delay_alu instid0(VALU_DEP_1)
	v_cmpx_gt_i32_e64 s12, v11
	s_cbranch_execz .LBB62_27
; %bb.24:
	s_xor_b32 s3, s7, s3
	v_dual_mov_b32 v1, 0 :: v_dual_bitop2_b32 v0, 1, v0 bitop3:0x40
	s_and_b32 s3, s3, exec_lo
	s_wait_kmcnt 0x0
	s_cselect_b32 s15, 0, s15
	s_cselect_b32 s14, 1, s14
	s_xor_b32 s3, s13, s8
	v_mul_u64_e32 v[4:5], s[14:15], v[0:1]
	s_and_b32 s3, s3, exec_lo
	s_cselect_b32 s9, s5, 0
	s_cselect_b32 s8, s4, 1
	s_clause 0x1
	s_load_b64 s[4:5], s[0:1], 0x28
	s_load_b64 s[16:17], s[0:1], 0x38
	v_mul_u64_e32 v[12:13], s[8:9], v[0:1]
	v_lshlrev_b64_e32 v[6:7], 1, v[6:7]
	v_lshlrev_b64_e32 v[8:9], 1, v[8:9]
	v_mov_b32_e32 v0, v11
	s_mov_b32 s3, 0
	s_lshl_b64 s[8:9], s[8:9], 2
	s_delay_alu instid0(VALU_DEP_3) | instskip(NEXT) | instid1(VALU_DEP_3)
	v_lshl_add_u64 v[4:5], v[4:5], 1, v[6:7]
	v_lshl_add_u64 v[6:7], v[12:13], 1, v[8:9]
	s_wait_kmcnt 0x0
	s_delay_alu instid0(VALU_DEP_2) | instskip(SKIP_1) | instid1(VALU_DEP_2)
	v_add_nc_u64_e32 v[4:5], s[4:5], v[4:5]
	s_lshl_b64 s[4:5], s[14:15], 2
	v_add_nc_u64_e32 v[6:7], s[16:17], v[6:7]
.LBB62_25:                              ; =>This Inner Loop Header: Depth=1
	global_load_u16 v8, v[4:5], off
	global_load_u16 v9, v[6:7], off
	v_add_nc_u32_e32 v0, 2, v0
	s_wait_xcnt 0x1
	v_add_nc_u64_e32 v[4:5], s[4:5], v[4:5]
	s_wait_xcnt 0x0
	v_add_nc_u64_e32 v[6:7], s[8:9], v[6:7]
	v_cmp_le_i32_e32 vcc_lo, s12, v0
	s_or_b32 s3, vcc_lo, s3
	s_wait_loadcnt 0x0
	v_mul_f16_e32 v8, v8, v9
	s_delay_alu instid0(VALU_DEP_1) | instskip(NEXT) | instid1(VALU_DEP_1)
	v_cvt_f32_f16_e32 v8, v8
	v_add_f32_e32 v1, v1, v8
	s_and_not1_b32 exec_lo, exec_lo, s3
	s_cbranch_execnz .LBB62_25
; %bb.26:
	s_or_b32 exec_lo, exec_lo, s3
.LBB62_27:
	s_delay_alu instid0(SALU_CYCLE_1) | instskip(SKIP_4) | instid1(VALU_DEP_2)
	s_or_b32 exec_lo, exec_lo, s10
	s_wait_xcnt 0x0
	s_load_b64 s[0:1], s[0:1], 0x50
	v_lshlrev_b32_e32 v0, 3, v10
	v_cmp_eq_u32_e32 vcc_lo, 0, v11
	v_lshl_or_b32 v4, v11, 2, v0
	ds_store_b32 v4, v1
	s_wait_dscnt 0x0
	s_barrier_signal -1
	s_barrier_wait -1
	s_and_saveexec_b32 s3, vcc_lo
	s_cbranch_execz .LBB62_29
; %bb.28:
	ds_load_b32 v1, v0 offset:4
	ds_load_b32 v5, v4
	s_wait_dscnt 0x0
	v_add_f32_e32 v1, v1, v5
	ds_store_b32 v4, v1
.LBB62_29:
	s_or_b32 exec_lo, exec_lo, s3
	s_wait_dscnt 0x0
	s_barrier_signal -1
	s_barrier_wait -1
	s_and_b32 exec_lo, exec_lo, vcc_lo
	s_cbranch_execz .LBB62_31
; %bb.30:
	s_wait_kmcnt 0x0
	v_lshl_add_u64 v[2:3], v[2:3], 2, s[0:1]
	ds_load_b32 v5, v0
	v_dual_mov_b32 v0, s6 :: v_dual_mov_b32 v1, s2
	global_load_b32 v4, v[2:3], off
	s_wait_loadcnt_dscnt 0x0
	v_pk_mul_f32 v[0:1], v[0:1], v[4:5]
	s_delay_alu instid0(VALU_DEP_1)
	v_add_f32_e32 v0, v0, v1
	global_store_b32 v[2:3], v0, off
.LBB62_31:
	s_endpgm
	.section	.rodata,"a",@progbits
	.p2align	6, 0x0
	.amdhsa_kernel _ZN9rocsparseL16sddmm_ell_kernelILi512ELi2EfiiDF16_DF16_fEEv20rocsparse_operation_S1_16rocsparse_order_S2_T3_S3_S3_T2_NS_24const_host_device_scalarIT1_EEPKT4_lPKT5_lS7_PT6_PKS3_21rocsparse_index_base_b
		.amdhsa_group_segment_fixed_size 2048
		.amdhsa_private_segment_fixed_size 0
		.amdhsa_kernarg_size 104
		.amdhsa_user_sgpr_count 2
		.amdhsa_user_sgpr_dispatch_ptr 0
		.amdhsa_user_sgpr_queue_ptr 0
		.amdhsa_user_sgpr_kernarg_segment_ptr 1
		.amdhsa_user_sgpr_dispatch_id 0
		.amdhsa_user_sgpr_kernarg_preload_length 0
		.amdhsa_user_sgpr_kernarg_preload_offset 0
		.amdhsa_user_sgpr_private_segment_size 0
		.amdhsa_wavefront_size32 1
		.amdhsa_uses_dynamic_stack 0
		.amdhsa_enable_private_segment 0
		.amdhsa_system_sgpr_workgroup_id_x 1
		.amdhsa_system_sgpr_workgroup_id_y 0
		.amdhsa_system_sgpr_workgroup_id_z 0
		.amdhsa_system_sgpr_workgroup_info 0
		.amdhsa_system_vgpr_workitem_id 0
		.amdhsa_next_free_vgpr 14
		.amdhsa_next_free_sgpr 18
		.amdhsa_named_barrier_count 0
		.amdhsa_reserve_vcc 1
		.amdhsa_float_round_mode_32 0
		.amdhsa_float_round_mode_16_64 0
		.amdhsa_float_denorm_mode_32 3
		.amdhsa_float_denorm_mode_16_64 3
		.amdhsa_fp16_overflow 0
		.amdhsa_memory_ordered 1
		.amdhsa_forward_progress 1
		.amdhsa_inst_pref_size 9
		.amdhsa_round_robin_scheduling 0
		.amdhsa_exception_fp_ieee_invalid_op 0
		.amdhsa_exception_fp_denorm_src 0
		.amdhsa_exception_fp_ieee_div_zero 0
		.amdhsa_exception_fp_ieee_overflow 0
		.amdhsa_exception_fp_ieee_underflow 0
		.amdhsa_exception_fp_ieee_inexact 0
		.amdhsa_exception_int_div_zero 0
	.end_amdhsa_kernel
	.section	.text._ZN9rocsparseL16sddmm_ell_kernelILi512ELi2EfiiDF16_DF16_fEEv20rocsparse_operation_S1_16rocsparse_order_S2_T3_S3_S3_T2_NS_24const_host_device_scalarIT1_EEPKT4_lPKT5_lS7_PT6_PKS3_21rocsparse_index_base_b,"axG",@progbits,_ZN9rocsparseL16sddmm_ell_kernelILi512ELi2EfiiDF16_DF16_fEEv20rocsparse_operation_S1_16rocsparse_order_S2_T3_S3_S3_T2_NS_24const_host_device_scalarIT1_EEPKT4_lPKT5_lS7_PT6_PKS3_21rocsparse_index_base_b,comdat
.Lfunc_end62:
	.size	_ZN9rocsparseL16sddmm_ell_kernelILi512ELi2EfiiDF16_DF16_fEEv20rocsparse_operation_S1_16rocsparse_order_S2_T3_S3_S3_T2_NS_24const_host_device_scalarIT1_EEPKT4_lPKT5_lS7_PT6_PKS3_21rocsparse_index_base_b, .Lfunc_end62-_ZN9rocsparseL16sddmm_ell_kernelILi512ELi2EfiiDF16_DF16_fEEv20rocsparse_operation_S1_16rocsparse_order_S2_T3_S3_S3_T2_NS_24const_host_device_scalarIT1_EEPKT4_lPKT5_lS7_PT6_PKS3_21rocsparse_index_base_b
                                        ; -- End function
	.set _ZN9rocsparseL16sddmm_ell_kernelILi512ELi2EfiiDF16_DF16_fEEv20rocsparse_operation_S1_16rocsparse_order_S2_T3_S3_S3_T2_NS_24const_host_device_scalarIT1_EEPKT4_lPKT5_lS7_PT6_PKS3_21rocsparse_index_base_b.num_vgpr, 14
	.set _ZN9rocsparseL16sddmm_ell_kernelILi512ELi2EfiiDF16_DF16_fEEv20rocsparse_operation_S1_16rocsparse_order_S2_T3_S3_S3_T2_NS_24const_host_device_scalarIT1_EEPKT4_lPKT5_lS7_PT6_PKS3_21rocsparse_index_base_b.num_agpr, 0
	.set _ZN9rocsparseL16sddmm_ell_kernelILi512ELi2EfiiDF16_DF16_fEEv20rocsparse_operation_S1_16rocsparse_order_S2_T3_S3_S3_T2_NS_24const_host_device_scalarIT1_EEPKT4_lPKT5_lS7_PT6_PKS3_21rocsparse_index_base_b.numbered_sgpr, 18
	.set _ZN9rocsparseL16sddmm_ell_kernelILi512ELi2EfiiDF16_DF16_fEEv20rocsparse_operation_S1_16rocsparse_order_S2_T3_S3_S3_T2_NS_24const_host_device_scalarIT1_EEPKT4_lPKT5_lS7_PT6_PKS3_21rocsparse_index_base_b.num_named_barrier, 0
	.set _ZN9rocsparseL16sddmm_ell_kernelILi512ELi2EfiiDF16_DF16_fEEv20rocsparse_operation_S1_16rocsparse_order_S2_T3_S3_S3_T2_NS_24const_host_device_scalarIT1_EEPKT4_lPKT5_lS7_PT6_PKS3_21rocsparse_index_base_b.private_seg_size, 0
	.set _ZN9rocsparseL16sddmm_ell_kernelILi512ELi2EfiiDF16_DF16_fEEv20rocsparse_operation_S1_16rocsparse_order_S2_T3_S3_S3_T2_NS_24const_host_device_scalarIT1_EEPKT4_lPKT5_lS7_PT6_PKS3_21rocsparse_index_base_b.uses_vcc, 1
	.set _ZN9rocsparseL16sddmm_ell_kernelILi512ELi2EfiiDF16_DF16_fEEv20rocsparse_operation_S1_16rocsparse_order_S2_T3_S3_S3_T2_NS_24const_host_device_scalarIT1_EEPKT4_lPKT5_lS7_PT6_PKS3_21rocsparse_index_base_b.uses_flat_scratch, 0
	.set _ZN9rocsparseL16sddmm_ell_kernelILi512ELi2EfiiDF16_DF16_fEEv20rocsparse_operation_S1_16rocsparse_order_S2_T3_S3_S3_T2_NS_24const_host_device_scalarIT1_EEPKT4_lPKT5_lS7_PT6_PKS3_21rocsparse_index_base_b.has_dyn_sized_stack, 0
	.set _ZN9rocsparseL16sddmm_ell_kernelILi512ELi2EfiiDF16_DF16_fEEv20rocsparse_operation_S1_16rocsparse_order_S2_T3_S3_S3_T2_NS_24const_host_device_scalarIT1_EEPKT4_lPKT5_lS7_PT6_PKS3_21rocsparse_index_base_b.has_recursion, 0
	.set _ZN9rocsparseL16sddmm_ell_kernelILi512ELi2EfiiDF16_DF16_fEEv20rocsparse_operation_S1_16rocsparse_order_S2_T3_S3_S3_T2_NS_24const_host_device_scalarIT1_EEPKT4_lPKT5_lS7_PT6_PKS3_21rocsparse_index_base_b.has_indirect_call, 0
	.section	.AMDGPU.csdata,"",@progbits
; Kernel info:
; codeLenInByte = 1080
; TotalNumSgprs: 20
; NumVgprs: 14
; ScratchSize: 0
; MemoryBound: 0
; FloatMode: 240
; IeeeMode: 1
; LDSByteSize: 2048 bytes/workgroup (compile time only)
; SGPRBlocks: 0
; VGPRBlocks: 0
; NumSGPRsForWavesPerEU: 20
; NumVGPRsForWavesPerEU: 14
; NamedBarCnt: 0
; Occupancy: 16
; WaveLimiterHint : 0
; COMPUTE_PGM_RSRC2:SCRATCH_EN: 0
; COMPUTE_PGM_RSRC2:USER_SGPR: 2
; COMPUTE_PGM_RSRC2:TRAP_HANDLER: 0
; COMPUTE_PGM_RSRC2:TGID_X_EN: 1
; COMPUTE_PGM_RSRC2:TGID_Y_EN: 0
; COMPUTE_PGM_RSRC2:TGID_Z_EN: 0
; COMPUTE_PGM_RSRC2:TIDIG_COMP_CNT: 0
	.section	.text._ZN9rocsparseL16sddmm_ell_kernelILi512ELi1EfiiDF16_DF16_fEEv20rocsparse_operation_S1_16rocsparse_order_S2_T3_S3_S3_T2_NS_24const_host_device_scalarIT1_EEPKT4_lPKT5_lS7_PT6_PKS3_21rocsparse_index_base_b,"axG",@progbits,_ZN9rocsparseL16sddmm_ell_kernelILi512ELi1EfiiDF16_DF16_fEEv20rocsparse_operation_S1_16rocsparse_order_S2_T3_S3_S3_T2_NS_24const_host_device_scalarIT1_EEPKT4_lPKT5_lS7_PT6_PKS3_21rocsparse_index_base_b,comdat
	.globl	_ZN9rocsparseL16sddmm_ell_kernelILi512ELi1EfiiDF16_DF16_fEEv20rocsparse_operation_S1_16rocsparse_order_S2_T3_S3_S3_T2_NS_24const_host_device_scalarIT1_EEPKT4_lPKT5_lS7_PT6_PKS3_21rocsparse_index_base_b ; -- Begin function _ZN9rocsparseL16sddmm_ell_kernelILi512ELi1EfiiDF16_DF16_fEEv20rocsparse_operation_S1_16rocsparse_order_S2_T3_S3_S3_T2_NS_24const_host_device_scalarIT1_EEPKT4_lPKT5_lS7_PT6_PKS3_21rocsparse_index_base_b
	.p2align	8
	.type	_ZN9rocsparseL16sddmm_ell_kernelILi512ELi1EfiiDF16_DF16_fEEv20rocsparse_operation_S1_16rocsparse_order_S2_T3_S3_S3_T2_NS_24const_host_device_scalarIT1_EEPKT4_lPKT5_lS7_PT6_PKS3_21rocsparse_index_base_b,@function
_ZN9rocsparseL16sddmm_ell_kernelILi512ELi1EfiiDF16_DF16_fEEv20rocsparse_operation_S1_16rocsparse_order_S2_T3_S3_S3_T2_NS_24const_host_device_scalarIT1_EEPKT4_lPKT5_lS7_PT6_PKS3_21rocsparse_index_base_b: ; @_ZN9rocsparseL16sddmm_ell_kernelILi512ELi1EfiiDF16_DF16_fEEv20rocsparse_operation_S1_16rocsparse_order_S2_T3_S3_S3_T2_NS_24const_host_device_scalarIT1_EEPKT4_lPKT5_lS7_PT6_PKS3_21rocsparse_index_base_b
; %bb.0:
	s_clause 0x2
	s_load_b64 s[8:9], s[0:1], 0x60
	s_load_b64 s[2:3], s[0:1], 0x20
	s_load_b128 s[4:7], s[0:1], 0x40
	s_wait_kmcnt 0x0
	s_bitcmp1_b32 s9, 0
	s_cselect_b32 s9, -1, 0
	s_delay_alu instid0(SALU_CYCLE_1)
	s_and_b32 vcc_lo, exec_lo, s9
	s_xor_b32 s9, s9, -1
	s_cbranch_vccnz .LBB63_2
; %bb.1:
	s_load_b32 s2, s[2:3], 0x0
.LBB63_2:
	s_and_not1_b32 vcc_lo, exec_lo, s9
	s_cbranch_vccnz .LBB63_4
; %bb.3:
	s_load_b32 s6, s[6:7], 0x0
.LBB63_4:
	s_wait_kmcnt 0x0
	s_cmp_eq_f32 s2, 0
	s_cselect_b32 s3, -1, 0
	s_cmp_eq_f32 s6, 1.0
	s_cselect_b32 s7, -1, 0
	s_delay_alu instid0(SALU_CYCLE_1) | instskip(NEXT) | instid1(SALU_CYCLE_1)
	s_and_b32 s3, s3, s7
	s_and_b32 vcc_lo, exec_lo, s3
	s_cbranch_vccnz .LBB63_28
; %bb.5:
	s_load_b64 s[12:13], s[0:1], 0x18
	s_bfe_u32 s3, ttmp6, 0x4000c
	s_and_b32 s7, ttmp6, 15
	s_add_co_i32 s3, s3, 1
	s_getreg_b32 s9, hwreg(HW_REG_IB_STS2, 6, 4)
	s_mul_i32 s3, ttmp9, s3
	s_delay_alu instid0(SALU_CYCLE_1) | instskip(SKIP_2) | instid1(SALU_CYCLE_1)
	s_add_co_i32 s7, s7, s3
	s_cmp_eq_u32 s9, 0
	s_cselect_b32 s3, ttmp9, s7
	v_lshl_or_b32 v2, s3, 9, v0
	s_mov_b32 s3, exec_lo
	s_wait_kmcnt 0x0
	s_delay_alu instid0(VALU_DEP_1)
	v_cmpx_gt_i32_e64 s13, v2
	s_cbranch_execz .LBB63_28
; %bb.6:
	s_load_b64 s[10:11], s[0:1], 0x58
	s_mov_b32 s13, -1
	s_wait_kmcnt 0x0
	global_load_b32 v1, v2, s[10:11] scale_offset
	s_wait_loadcnt 0x0
	v_subrev_nc_u32_e32 v4, s8, v1
	s_delay_alu instid0(VALU_DEP_1)
	v_cmp_lt_i32_e32 vcc_lo, -1, v4
	s_and_b32 exec_lo, exec_lo, vcc_lo
	s_cbranch_execz .LBB63_28
; %bb.7:
	s_clause 0x1
	s_load_b128 s[8:11], s[0:1], 0x0
	s_load_b32 s14, s[0:1], 0x10
                                        ; implicit-def: $vgpr6_vgpr7
	s_wait_kmcnt 0x0
	s_cmp_eq_u32 s10, 1
	s_cselect_b32 s3, -1, 0
	s_cmp_eq_u32 s8, 0x6f
	s_cselect_b32 s7, -1, 0
	s_cmp_lg_u32 s8, 0x6f
	s_cselect_b32 s8, -1, 0
	s_abs_i32 s16, s14
	s_delay_alu instid0(SALU_CYCLE_1) | instskip(SKIP_1) | instid1(SALU_CYCLE_2)
	s_cvt_f32_u32 s14, s16
	s_sub_co_i32 s15, 0, s16
	v_rcp_iflag_f32_e32 v1, s14
	v_nop
	s_delay_alu instid0(TRANS32_DEP_1) | instskip(SKIP_2) | instid1(VALU_DEP_1)
	v_readfirstlane_b32 s14, v1
	v_sub_nc_u32_e32 v1, 0, v2
	s_mul_f32 s14, s14, 0x4f7ffffe
	v_max_i32_e32 v1, v2, v1
	s_delay_alu instid0(SALU_CYCLE_2) | instskip(NEXT) | instid1(SALU_CYCLE_3)
	s_cvt_u32_f32 s14, s14
	s_mul_i32 s15, s15, s14
	s_delay_alu instid0(SALU_CYCLE_1) | instskip(NEXT) | instid1(SALU_CYCLE_1)
	s_mul_hi_u32 s15, s14, s15
	s_add_co_i32 s14, s14, s15
	s_cmp_lg_u32 s10, 1
	v_mul_hi_u32 v3, v1, s14
	s_load_b64 s[14:15], s[0:1], 0x30
	s_delay_alu instid0(VALU_DEP_1) | instskip(NEXT) | instid1(VALU_DEP_1)
	v_mul_lo_u32 v3, v3, s16
	v_sub_nc_u32_e32 v1, v1, v3
	s_delay_alu instid0(VALU_DEP_1) | instskip(SKIP_1) | instid1(VALU_DEP_2)
	v_subrev_nc_u32_e32 v3, s16, v1
	v_cmp_le_u32_e32 vcc_lo, s16, v1
	v_dual_cndmask_b32 v1, v1, v3, vcc_lo :: v_dual_ashrrev_i32 v3, 31, v2
	s_delay_alu instid0(VALU_DEP_1) | instskip(SKIP_1) | instid1(VALU_DEP_2)
	v_subrev_nc_u32_e32 v5, s16, v1
	v_cmp_le_u32_e32 vcc_lo, s16, v1
	v_cndmask_b32_e32 v1, v1, v5, vcc_lo
	s_delay_alu instid0(VALU_DEP_1) | instskip(NEXT) | instid1(VALU_DEP_1)
	v_xor_b32_e32 v1, v1, v3
	v_sub_nc_u32_e32 v8, v1, v3
	s_delay_alu instid0(VALU_DEP_1)
	v_ashrrev_i32_e32 v9, 31, v8
	s_cbranch_scc0 .LBB63_11
; %bb.8:
	s_delay_alu instid0(VALU_DEP_1)
	v_mov_b64_e32 v[6:7], v[8:9]
	s_and_not1_b32 vcc_lo, exec_lo, s7
	s_cbranch_vccnz .LBB63_10
; %bb.9:
	s_wait_kmcnt 0x0
	v_mul_u64_e32 v[6:7], s[14:15], v[8:9]
.LBB63_10:
	s_mov_b32 s13, 0
.LBB63_11:
	s_delay_alu instid0(SALU_CYCLE_1)
	s_and_not1_b32 vcc_lo, exec_lo, s13
	s_cbranch_vccnz .LBB63_15
; %bb.12:
	s_and_not1_b32 vcc_lo, exec_lo, s8
	s_cbranch_vccnz .LBB63_14
; %bb.13:
	s_wait_kmcnt 0x0
	v_mul_u64_e32 v[8:9], s[14:15], v[8:9]
.LBB63_14:
	s_delay_alu instid0(VALU_DEP_1)
	v_mov_b64_e32 v[6:7], v[8:9]
.LBB63_15:
	s_cmp_eq_u32 s11, 1
	v_mov_b32_e32 v5, 0
	s_cselect_b32 s8, -1, 0
	s_cmp_eq_u32 s9, 0x6f
	s_cselect_b32 s10, -1, 0
	s_cmp_lg_u32 s9, 0x6f
	s_cselect_b32 s9, -1, 0
	s_cmp_lg_u32 s11, 1
	s_cbranch_scc0 .LBB63_19
; %bb.16:
	v_mov_b64_e32 v[8:9], v[4:5]
	s_and_not1_b32 vcc_lo, exec_lo, s9
	s_cbranch_vccnz .LBB63_18
; %bb.17:
	v_mul_u64_e32 v[8:9], s[4:5], v[4:5]
.LBB63_18:
	s_cbranch_execz .LBB63_20
	s_branch .LBB63_23
.LBB63_19:
                                        ; implicit-def: $vgpr8_vgpr9
.LBB63_20:
	s_and_not1_b32 vcc_lo, exec_lo, s10
	s_cbranch_vccnz .LBB63_22
; %bb.21:
	v_mul_u64_e32 v[4:5], s[4:5], v[4:5]
.LBB63_22:
	s_delay_alu instid0(VALU_DEP_1)
	v_mov_b64_e32 v[8:9], v[4:5]
.LBB63_23:
	s_cmp_lt_i32 s12, 1
	s_cbranch_scc1 .LBB63_26
; %bb.24:
	s_clause 0x1
	s_load_b64 s[16:17], s[0:1], 0x38
	s_load_b64 s[18:19], s[0:1], 0x28
	s_xor_b32 s3, s7, s3
	v_mov_b32_e32 v1, 0
	s_and_b32 s3, s3, exec_lo
	s_wait_kmcnt 0x0
	s_cselect_b32 s15, 0, s15
	s_cselect_b32 s14, 1, s14
	s_xor_b32 s3, s10, s8
	s_delay_alu instid0(SALU_CYCLE_1) | instskip(SKIP_4) | instid1(VALU_DEP_2)
	s_and_b32 s3, s3, exec_lo
	s_cselect_b32 s9, s5, 0
	s_cselect_b32 s8, s4, 1
	s_lshl_b64 s[4:5], s[14:15], 1
	s_lshl_b64 s[8:9], s[8:9], 1
	v_lshl_add_u64 v[4:5], v[8:9], 1, s[16:17]
	v_lshl_add_u64 v[6:7], v[6:7], 1, s[18:19]
.LBB63_25:                              ; =>This Inner Loop Header: Depth=1
	global_load_u16 v8, v[6:7], off
	global_load_u16 v9, v[4:5], off
	s_wait_xcnt 0x1
	v_add_nc_u64_e32 v[6:7], s[4:5], v[6:7]
	s_wait_xcnt 0x0
	v_add_nc_u64_e32 v[4:5], s[8:9], v[4:5]
	s_add_co_i32 s12, s12, -1
	s_delay_alu instid0(SALU_CYCLE_1) | instskip(SKIP_2) | instid1(VALU_DEP_1)
	s_cmp_eq_u32 s12, 0
	s_wait_loadcnt 0x0
	v_mul_f16_e32 v8, v8, v9
	v_cvt_f32_f16_e32 v8, v8
	s_delay_alu instid0(VALU_DEP_1)
	v_add_f32_e32 v1, v1, v8
	s_cbranch_scc0 .LBB63_25
	s_branch .LBB63_27
.LBB63_26:
	v_mov_b32_e32 v1, 0
.LBB63_27:
	s_wait_xcnt 0x0
	s_load_b64 s[0:1], s[0:1], 0x50
	v_dual_mov_b32 v5, s2 :: v_dual_lshlrev_b32 v4, 2, v0
	ds_store_b32 v4, v1
	s_wait_dscnt 0x0
	s_barrier_signal -1
	s_barrier_wait -1
	ds_load_b32 v1, v4
	v_mov_b32_e32 v4, s6
	s_wait_kmcnt 0x0
	v_lshl_add_u64 v[2:3], v[2:3], 2, s[0:1]
	global_load_b32 v0, v[2:3], off
	s_wait_loadcnt_dscnt 0x0
	v_pk_mul_f32 v[0:1], v[4:5], v[0:1]
	s_delay_alu instid0(VALU_DEP_1)
	v_add_f32_e32 v0, v0, v1
	global_store_b32 v[2:3], v0, off
.LBB63_28:
	s_endpgm
	.section	.rodata,"a",@progbits
	.p2align	6, 0x0
	.amdhsa_kernel _ZN9rocsparseL16sddmm_ell_kernelILi512ELi1EfiiDF16_DF16_fEEv20rocsparse_operation_S1_16rocsparse_order_S2_T3_S3_S3_T2_NS_24const_host_device_scalarIT1_EEPKT4_lPKT5_lS7_PT6_PKS3_21rocsparse_index_base_b
		.amdhsa_group_segment_fixed_size 2048
		.amdhsa_private_segment_fixed_size 0
		.amdhsa_kernarg_size 104
		.amdhsa_user_sgpr_count 2
		.amdhsa_user_sgpr_dispatch_ptr 0
		.amdhsa_user_sgpr_queue_ptr 0
		.amdhsa_user_sgpr_kernarg_segment_ptr 1
		.amdhsa_user_sgpr_dispatch_id 0
		.amdhsa_user_sgpr_kernarg_preload_length 0
		.amdhsa_user_sgpr_kernarg_preload_offset 0
		.amdhsa_user_sgpr_private_segment_size 0
		.amdhsa_wavefront_size32 1
		.amdhsa_uses_dynamic_stack 0
		.amdhsa_enable_private_segment 0
		.amdhsa_system_sgpr_workgroup_id_x 1
		.amdhsa_system_sgpr_workgroup_id_y 0
		.amdhsa_system_sgpr_workgroup_id_z 0
		.amdhsa_system_sgpr_workgroup_info 0
		.amdhsa_system_vgpr_workitem_id 0
		.amdhsa_next_free_vgpr 10
		.amdhsa_next_free_sgpr 20
		.amdhsa_named_barrier_count 0
		.amdhsa_reserve_vcc 1
		.amdhsa_float_round_mode_32 0
		.amdhsa_float_round_mode_16_64 0
		.amdhsa_float_denorm_mode_32 3
		.amdhsa_float_denorm_mode_16_64 3
		.amdhsa_fp16_overflow 0
		.amdhsa_memory_ordered 1
		.amdhsa_forward_progress 1
		.amdhsa_inst_pref_size 8
		.amdhsa_round_robin_scheduling 0
		.amdhsa_exception_fp_ieee_invalid_op 0
		.amdhsa_exception_fp_denorm_src 0
		.amdhsa_exception_fp_ieee_div_zero 0
		.amdhsa_exception_fp_ieee_overflow 0
		.amdhsa_exception_fp_ieee_underflow 0
		.amdhsa_exception_fp_ieee_inexact 0
		.amdhsa_exception_int_div_zero 0
	.end_amdhsa_kernel
	.section	.text._ZN9rocsparseL16sddmm_ell_kernelILi512ELi1EfiiDF16_DF16_fEEv20rocsparse_operation_S1_16rocsparse_order_S2_T3_S3_S3_T2_NS_24const_host_device_scalarIT1_EEPKT4_lPKT5_lS7_PT6_PKS3_21rocsparse_index_base_b,"axG",@progbits,_ZN9rocsparseL16sddmm_ell_kernelILi512ELi1EfiiDF16_DF16_fEEv20rocsparse_operation_S1_16rocsparse_order_S2_T3_S3_S3_T2_NS_24const_host_device_scalarIT1_EEPKT4_lPKT5_lS7_PT6_PKS3_21rocsparse_index_base_b,comdat
.Lfunc_end63:
	.size	_ZN9rocsparseL16sddmm_ell_kernelILi512ELi1EfiiDF16_DF16_fEEv20rocsparse_operation_S1_16rocsparse_order_S2_T3_S3_S3_T2_NS_24const_host_device_scalarIT1_EEPKT4_lPKT5_lS7_PT6_PKS3_21rocsparse_index_base_b, .Lfunc_end63-_ZN9rocsparseL16sddmm_ell_kernelILi512ELi1EfiiDF16_DF16_fEEv20rocsparse_operation_S1_16rocsparse_order_S2_T3_S3_S3_T2_NS_24const_host_device_scalarIT1_EEPKT4_lPKT5_lS7_PT6_PKS3_21rocsparse_index_base_b
                                        ; -- End function
	.set _ZN9rocsparseL16sddmm_ell_kernelILi512ELi1EfiiDF16_DF16_fEEv20rocsparse_operation_S1_16rocsparse_order_S2_T3_S3_S3_T2_NS_24const_host_device_scalarIT1_EEPKT4_lPKT5_lS7_PT6_PKS3_21rocsparse_index_base_b.num_vgpr, 10
	.set _ZN9rocsparseL16sddmm_ell_kernelILi512ELi1EfiiDF16_DF16_fEEv20rocsparse_operation_S1_16rocsparse_order_S2_T3_S3_S3_T2_NS_24const_host_device_scalarIT1_EEPKT4_lPKT5_lS7_PT6_PKS3_21rocsparse_index_base_b.num_agpr, 0
	.set _ZN9rocsparseL16sddmm_ell_kernelILi512ELi1EfiiDF16_DF16_fEEv20rocsparse_operation_S1_16rocsparse_order_S2_T3_S3_S3_T2_NS_24const_host_device_scalarIT1_EEPKT4_lPKT5_lS7_PT6_PKS3_21rocsparse_index_base_b.numbered_sgpr, 20
	.set _ZN9rocsparseL16sddmm_ell_kernelILi512ELi1EfiiDF16_DF16_fEEv20rocsparse_operation_S1_16rocsparse_order_S2_T3_S3_S3_T2_NS_24const_host_device_scalarIT1_EEPKT4_lPKT5_lS7_PT6_PKS3_21rocsparse_index_base_b.num_named_barrier, 0
	.set _ZN9rocsparseL16sddmm_ell_kernelILi512ELi1EfiiDF16_DF16_fEEv20rocsparse_operation_S1_16rocsparse_order_S2_T3_S3_S3_T2_NS_24const_host_device_scalarIT1_EEPKT4_lPKT5_lS7_PT6_PKS3_21rocsparse_index_base_b.private_seg_size, 0
	.set _ZN9rocsparseL16sddmm_ell_kernelILi512ELi1EfiiDF16_DF16_fEEv20rocsparse_operation_S1_16rocsparse_order_S2_T3_S3_S3_T2_NS_24const_host_device_scalarIT1_EEPKT4_lPKT5_lS7_PT6_PKS3_21rocsparse_index_base_b.uses_vcc, 1
	.set _ZN9rocsparseL16sddmm_ell_kernelILi512ELi1EfiiDF16_DF16_fEEv20rocsparse_operation_S1_16rocsparse_order_S2_T3_S3_S3_T2_NS_24const_host_device_scalarIT1_EEPKT4_lPKT5_lS7_PT6_PKS3_21rocsparse_index_base_b.uses_flat_scratch, 0
	.set _ZN9rocsparseL16sddmm_ell_kernelILi512ELi1EfiiDF16_DF16_fEEv20rocsparse_operation_S1_16rocsparse_order_S2_T3_S3_S3_T2_NS_24const_host_device_scalarIT1_EEPKT4_lPKT5_lS7_PT6_PKS3_21rocsparse_index_base_b.has_dyn_sized_stack, 0
	.set _ZN9rocsparseL16sddmm_ell_kernelILi512ELi1EfiiDF16_DF16_fEEv20rocsparse_operation_S1_16rocsparse_order_S2_T3_S3_S3_T2_NS_24const_host_device_scalarIT1_EEPKT4_lPKT5_lS7_PT6_PKS3_21rocsparse_index_base_b.has_recursion, 0
	.set _ZN9rocsparseL16sddmm_ell_kernelILi512ELi1EfiiDF16_DF16_fEEv20rocsparse_operation_S1_16rocsparse_order_S2_T3_S3_S3_T2_NS_24const_host_device_scalarIT1_EEPKT4_lPKT5_lS7_PT6_PKS3_21rocsparse_index_base_b.has_indirect_call, 0
	.section	.AMDGPU.csdata,"",@progbits
; Kernel info:
; codeLenInByte = 920
; TotalNumSgprs: 22
; NumVgprs: 10
; ScratchSize: 0
; MemoryBound: 0
; FloatMode: 240
; IeeeMode: 1
; LDSByteSize: 2048 bytes/workgroup (compile time only)
; SGPRBlocks: 0
; VGPRBlocks: 0
; NumSGPRsForWavesPerEU: 22
; NumVGPRsForWavesPerEU: 10
; NamedBarCnt: 0
; Occupancy: 16
; WaveLimiterHint : 0
; COMPUTE_PGM_RSRC2:SCRATCH_EN: 0
; COMPUTE_PGM_RSRC2:USER_SGPR: 2
; COMPUTE_PGM_RSRC2:TRAP_HANDLER: 0
; COMPUTE_PGM_RSRC2:TGID_X_EN: 1
; COMPUTE_PGM_RSRC2:TGID_Y_EN: 0
; COMPUTE_PGM_RSRC2:TGID_Z_EN: 0
; COMPUTE_PGM_RSRC2:TIDIG_COMP_CNT: 0
	.section	.text._ZN9rocsparseL16sddmm_ell_kernelILi512ELi8EfllDF16_DF16_fEEv20rocsparse_operation_S1_16rocsparse_order_S2_T3_S3_S3_T2_NS_24const_host_device_scalarIT1_EEPKT4_lPKT5_lS7_PT6_PKS3_21rocsparse_index_base_b,"axG",@progbits,_ZN9rocsparseL16sddmm_ell_kernelILi512ELi8EfllDF16_DF16_fEEv20rocsparse_operation_S1_16rocsparse_order_S2_T3_S3_S3_T2_NS_24const_host_device_scalarIT1_EEPKT4_lPKT5_lS7_PT6_PKS3_21rocsparse_index_base_b,comdat
	.globl	_ZN9rocsparseL16sddmm_ell_kernelILi512ELi8EfllDF16_DF16_fEEv20rocsparse_operation_S1_16rocsparse_order_S2_T3_S3_S3_T2_NS_24const_host_device_scalarIT1_EEPKT4_lPKT5_lS7_PT6_PKS3_21rocsparse_index_base_b ; -- Begin function _ZN9rocsparseL16sddmm_ell_kernelILi512ELi8EfllDF16_DF16_fEEv20rocsparse_operation_S1_16rocsparse_order_S2_T3_S3_S3_T2_NS_24const_host_device_scalarIT1_EEPKT4_lPKT5_lS7_PT6_PKS3_21rocsparse_index_base_b
	.p2align	8
	.type	_ZN9rocsparseL16sddmm_ell_kernelILi512ELi8EfllDF16_DF16_fEEv20rocsparse_operation_S1_16rocsparse_order_S2_T3_S3_S3_T2_NS_24const_host_device_scalarIT1_EEPKT4_lPKT5_lS7_PT6_PKS3_21rocsparse_index_base_b,@function
_ZN9rocsparseL16sddmm_ell_kernelILi512ELi8EfllDF16_DF16_fEEv20rocsparse_operation_S1_16rocsparse_order_S2_T3_S3_S3_T2_NS_24const_host_device_scalarIT1_EEPKT4_lPKT5_lS7_PT6_PKS3_21rocsparse_index_base_b: ; @_ZN9rocsparseL16sddmm_ell_kernelILi512ELi8EfllDF16_DF16_fEEv20rocsparse_operation_S1_16rocsparse_order_S2_T3_S3_S3_T2_NS_24const_host_device_scalarIT1_EEPKT4_lPKT5_lS7_PT6_PKS3_21rocsparse_index_base_b
; %bb.0:
	s_clause 0x2
	s_load_b64 s[12:13], s[0:1], 0x70
	s_load_b64 s[16:17], s[0:1], 0x30
	s_load_b128 s[4:7], s[0:1], 0x50
	s_wait_kmcnt 0x0
	s_bitcmp1_b32 s13, 0
	s_cselect_b32 s2, -1, 0
	s_delay_alu instid0(SALU_CYCLE_1)
	s_and_b32 vcc_lo, exec_lo, s2
	s_xor_b32 s2, s2, -1
	s_cbranch_vccnz .LBB64_2
; %bb.1:
	s_load_b32 s16, s[16:17], 0x0
.LBB64_2:
	s_and_not1_b32 vcc_lo, exec_lo, s2
	s_cbranch_vccnz .LBB64_4
; %bb.3:
	s_load_b32 s6, s[6:7], 0x0
.LBB64_4:
	s_wait_kmcnt 0x0
	s_cmp_eq_f32 s16, 0
	s_cselect_b32 s2, -1, 0
	s_cmp_eq_f32 s6, 1.0
	s_cselect_b32 s3, -1, 0
	s_delay_alu instid0(SALU_CYCLE_1) | instskip(NEXT) | instid1(SALU_CYCLE_1)
	s_and_b32 s2, s2, s3
	s_and_b32 vcc_lo, exec_lo, s2
	s_cbranch_vccnz .LBB64_39
; %bb.5:
	s_load_b128 s[8:11], s[0:1], 0x20
	s_bfe_u32 s2, ttmp6, 0x4000c
	s_and_b32 s3, ttmp6, 15
	s_add_co_i32 s2, s2, 1
	s_getreg_b32 s7, hwreg(HW_REG_IB_STS2, 6, 4)
	s_mul_i32 s2, ttmp9, s2
	v_dual_mov_b32 v3, 0 :: v_dual_lshrrev_b32 v10, 3, v0
	s_add_co_i32 s3, s3, s2
	s_cmp_eq_u32 s7, 0
	s_cselect_b32 s2, ttmp9, s3
	s_delay_alu instid0(VALU_DEP_1) | instid1(SALU_CYCLE_1)
	v_lshl_or_b32 v2, s2, 6, v10
	s_mov_b32 s2, exec_lo
	s_wait_kmcnt 0x0
	s_delay_alu instid0(VALU_DEP_1)
	v_cmpx_gt_i64_e64 s[10:11], v[2:3]
	s_cbranch_execz .LBB64_39
; %bb.6:
	s_load_b64 s[10:11], s[0:1], 0x10
                                        ; implicit-def: $vgpr8_vgpr9
	s_wait_kmcnt 0x0
	s_and_b64 s[2:3], s[10:11], 0xffffffff00000000
	s_delay_alu instid0(SALU_CYCLE_1) | instskip(SKIP_1) | instid1(SALU_CYCLE_1)
	s_cmp_lg_u64 s[2:3], 0
	s_cselect_b32 s2, -1, 0
	s_and_saveexec_b32 s3, s2
	s_delay_alu instid0(SALU_CYCLE_1)
	s_xor_b32 s3, exec_lo, s3
	s_cbranch_execz .LBB64_8
; %bb.7:
	s_ashr_i32 s14, s11, 31
	s_mov_b32 s25, 0
	s_mov_b32 s15, s14
	v_add_nc_u64_e32 v[4:5], 0, v[2:3]
	s_add_nc_u64 s[18:19], s[10:11], s[14:15]
	v_mov_b32_e32 v7, 0
	s_xor_b64 s[14:15], s[18:19], s[14:15]
	s_delay_alu instid0(SALU_CYCLE_1) | instskip(SKIP_3) | instid1(SALU_CYCLE_1)
	s_cvt_f32_u32 s2, s14
	s_cvt_f32_u32 s7, s15
	s_sub_nc_u64 s[20:21], 0, s[14:15]
	v_mov_b32_e32 v6, v4
	s_fmamk_f32 s2, s7, 0x4f800000, s2
	s_delay_alu instid0(SALU_CYCLE_3) | instskip(NEXT) | instid1(TRANS32_DEP_1)
	v_s_rcp_f32 s2, s2
	s_mul_f32 s2, s2, 0x5f7ffffc
	s_delay_alu instid0(SALU_CYCLE_3) | instskip(NEXT) | instid1(SALU_CYCLE_3)
	s_mul_f32 s7, s2, 0x2f800000
	s_trunc_f32 s7, s7
	s_delay_alu instid0(SALU_CYCLE_3) | instskip(SKIP_1) | instid1(SALU_CYCLE_2)
	s_fmamk_f32 s2, s7, 0xcf800000, s2
	s_cvt_u32_f32 s19, s7
	s_cvt_u32_f32 s18, s2
	s_delay_alu instid0(SALU_CYCLE_3) | instskip(NEXT) | instid1(SALU_CYCLE_1)
	s_mul_u64 s[22:23], s[20:21], s[18:19]
	s_mul_hi_u32 s27, s18, s23
	s_mul_i32 s26, s18, s23
	s_mul_hi_u32 s24, s18, s22
	s_mul_i32 s7, s19, s22
	s_add_nc_u64 s[26:27], s[24:25], s[26:27]
	s_mul_hi_u32 s2, s19, s22
	s_mul_hi_u32 s11, s19, s23
	s_add_co_u32 s7, s26, s7
	s_add_co_ci_u32 s24, s27, s2
	s_mul_i32 s22, s19, s23
	s_add_co_ci_u32 s23, s11, 0
	s_delay_alu instid0(SALU_CYCLE_1) | instskip(NEXT) | instid1(SALU_CYCLE_1)
	s_add_nc_u64 s[22:23], s[24:25], s[22:23]
	s_add_co_u32 s18, s18, s22
	s_cselect_b32 s2, -1, 0
	s_delay_alu instid0(SALU_CYCLE_1) | instskip(SKIP_1) | instid1(SALU_CYCLE_1)
	s_cmp_lg_u32 s2, 0
	s_add_co_ci_u32 s19, s19, s23
	s_mul_u64 s[20:21], s[20:21], s[18:19]
	s_delay_alu instid0(SALU_CYCLE_1)
	s_mul_hi_u32 s23, s18, s21
	s_mul_i32 s22, s18, s21
	s_mul_hi_u32 s24, s18, s20
	s_mul_i32 s7, s19, s20
	s_add_nc_u64 s[22:23], s[24:25], s[22:23]
	s_mul_hi_u32 s2, s19, s20
	s_mul_hi_u32 s11, s19, s21
	s_add_co_u32 s7, s22, s7
	s_add_co_ci_u32 s24, s23, s2
	s_mul_i32 s20, s19, s21
	s_add_co_ci_u32 s21, s11, 0
	s_delay_alu instid0(SALU_CYCLE_1) | instskip(NEXT) | instid1(SALU_CYCLE_1)
	s_add_nc_u64 s[20:21], s[24:25], s[20:21]
	s_add_co_u32 s2, s18, s20
	s_cselect_b32 s7, -1, 0
	s_delay_alu instid0(SALU_CYCLE_1)
	s_cmp_lg_u32 s7, 0
	s_add_co_ci_u32 s24, s19, s21
	s_mov_b64 s[18:19], 0xffffffff
	v_mul_u64_e32 v[8:9], s[24:25], v[6:7]
	v_mul_hi_u32 v6, v4, s2
	s_and_b64 s[18:19], s[2:3], s[18:19]
	s_delay_alu instid0(VALU_DEP_1) | instskip(SKIP_1) | instid1(VALU_DEP_1)
	v_add_nc_u64_e32 v[8:9], v[6:7], v[8:9]
	v_mov_b32_e32 v6, v5
	v_mul_u64_e32 v[12:13], s[18:19], v[6:7]
	v_mul_u64_e32 v[14:15], s[24:25], v[6:7]
	s_delay_alu instid0(VALU_DEP_2) | instskip(NEXT) | instid1(VALU_DEP_3)
	v_add_co_u32 v1, vcc_lo, v8, v12
	v_add_co_ci_u32_e32 v6, vcc_lo, v9, v13, vcc_lo
	s_delay_alu instid0(VALU_DEP_3) | instskip(NEXT) | instid1(VALU_DEP_1)
	v_add_co_ci_u32_e32 v15, vcc_lo, 0, v15, vcc_lo
	v_add_nc_u64_e32 v[6:7], v[6:7], v[14:15]
	s_delay_alu instid0(VALU_DEP_1) | instskip(NEXT) | instid1(VALU_DEP_1)
	v_mul_u64_e32 v[6:7], s[14:15], v[6:7]
	v_sub_nc_u32_e32 v1, v5, v7
	s_delay_alu instid0(VALU_DEP_2) | instskip(NEXT) | instid1(VALU_DEP_1)
	v_sub_co_u32 v4, vcc_lo, v4, v6
	v_sub_co_ci_u32_e64 v5, null, v5, v7, vcc_lo
	s_delay_alu instid0(VALU_DEP_3) | instskip(NEXT) | instid1(VALU_DEP_3)
	v_subrev_co_ci_u32_e64 v1, null, s15, v1, vcc_lo
	v_sub_co_u32 v6, vcc_lo, v4, s14
	v_cmp_le_u32_e64 s2, s14, v4
	s_delay_alu instid0(VALU_DEP_3) | instskip(SKIP_1) | instid1(VALU_DEP_3)
	v_subrev_co_ci_u32_e64 v7, null, 0, v1, vcc_lo
	v_subrev_co_ci_u32_e64 v1, null, s15, v1, vcc_lo
	v_cndmask_b32_e64 v8, 0, -1, s2
	v_cmp_le_u32_e64 s2, s14, v6
	v_cmp_le_u32_e32 vcc_lo, s15, v5
	s_delay_alu instid0(VALU_DEP_2) | instskip(SKIP_3) | instid1(VALU_DEP_3)
	v_cndmask_b32_e64 v9, 0, -1, s2
	v_cmp_le_u32_e64 s2, s15, v7
	v_cndmask_b32_e64 v12, 0, -1, vcc_lo
	v_cmp_eq_u32_e32 vcc_lo, s15, v7
	v_cndmask_b32_e64 v11, 0, -1, s2
	v_cmp_eq_u32_e64 s2, s15, v5
	s_delay_alu instid0(VALU_DEP_1) | instskip(SKIP_1) | instid1(VALU_DEP_1)
	v_dual_cndmask_b32 v9, v11, v9, vcc_lo :: v_dual_cndmask_b32 v8, v12, v8, s2
	v_sub_co_u32 v11, vcc_lo, v6, s14
	v_subrev_co_ci_u32_e64 v1, null, 0, v1, vcc_lo
	s_delay_alu instid0(VALU_DEP_3) | instskip(NEXT) | instid1(VALU_DEP_2)
	v_cmp_ne_u32_e32 vcc_lo, 0, v9
	v_dual_cndmask_b32 v1, v7, v1 :: v_dual_cndmask_b32 v6, v6, v11
	v_cmp_ne_u32_e32 vcc_lo, 0, v8
	s_delay_alu instid0(VALU_DEP_2) | instskip(NEXT) | instid1(VALU_DEP_1)
	v_dual_cndmask_b32 v5, v5, v1 :: v_dual_cndmask_b32 v4, v4, v6
	v_sub_nc_u64_e64 v[8:9], v[4:5], 0
.LBB64_8:
	s_or_saveexec_b32 s7, s3
	s_load_b64 s[2:3], s[0:1], 0x68
	s_xor_b32 exec_lo, exec_lo, s7
	s_cbranch_execz .LBB64_10
; %bb.9:
	v_cvt_f32_u32_e32 v1, s10
	s_sub_co_i32 s11, 0, s10
	v_mov_b32_e32 v9, 0
	s_delay_alu instid0(VALU_DEP_2) | instskip(SKIP_1) | instid1(TRANS32_DEP_1)
	v_rcp_iflag_f32_e32 v1, v1
	v_nop
	v_mul_f32_e32 v1, 0x4f7ffffe, v1
	s_delay_alu instid0(VALU_DEP_1) | instskip(NEXT) | instid1(VALU_DEP_1)
	v_cvt_u32_f32_e32 v1, v1
	v_mul_lo_u32 v4, s11, v1
	s_delay_alu instid0(VALU_DEP_1) | instskip(NEXT) | instid1(VALU_DEP_1)
	v_mul_hi_u32 v4, v1, v4
	v_add_nc_u32_e32 v1, v1, v4
	s_delay_alu instid0(VALU_DEP_1) | instskip(NEXT) | instid1(VALU_DEP_1)
	v_mul_hi_u32 v1, v2, v1
	v_mul_lo_u32 v1, v1, s10
	s_delay_alu instid0(VALU_DEP_1) | instskip(NEXT) | instid1(VALU_DEP_1)
	v_sub_nc_u32_e32 v1, v2, v1
	v_subrev_nc_u32_e32 v4, s10, v1
	v_cmp_le_u32_e32 vcc_lo, s10, v1
	s_delay_alu instid0(VALU_DEP_2) | instskip(NEXT) | instid1(VALU_DEP_1)
	v_cndmask_b32_e32 v1, v1, v4, vcc_lo
	v_subrev_nc_u32_e32 v4, s10, v1
	v_cmp_le_u32_e32 vcc_lo, s10, v1
	s_delay_alu instid0(VALU_DEP_2)
	v_cndmask_b32_e32 v8, v1, v4, vcc_lo
.LBB64_10:
	s_or_b32 exec_lo, exec_lo, s7
	s_wait_kmcnt 0x0
	v_lshl_add_u64 v[4:5], v[2:3], 3, s[2:3]
	s_mov_b32 s13, 0
	global_load_b64 v[4:5], v[4:5], off
	s_wait_loadcnt 0x0
	v_sub_nc_u64_e64 v[6:7], v[4:5], s[12:13]
	s_delay_alu instid0(VALU_DEP_1)
	v_cmp_lt_i64_e32 vcc_lo, -1, v[6:7]
	s_and_b32 exec_lo, exec_lo, vcc_lo
	s_cbranch_execz .LBB64_39
; %bb.11:
	s_clause 0x1
	s_load_b128 s[12:15], s[0:1], 0x0
	s_load_b64 s[2:3], s[0:1], 0x40
	s_wait_kmcnt 0x0
	s_cmp_eq_u32 s14, 1
	s_cselect_b32 s7, -1, 0
	s_cmp_eq_u32 s12, 0x6f
	s_cselect_b32 s10, -1, 0
	s_cmp_lg_u32 s12, 0x6f
	s_cselect_b32 s11, -1, 0
	s_cmp_lg_u32 s14, 1
	s_cbranch_scc0 .LBB64_15
; %bb.12:
	v_mov_b64_e32 v[4:5], v[8:9]
	s_and_not1_b32 vcc_lo, exec_lo, s10
	s_cbranch_vccnz .LBB64_14
; %bb.13:
	v_mul_u64_e32 v[4:5], s[2:3], v[8:9]
.LBB64_14:
	s_cbranch_execz .LBB64_16
	s_branch .LBB64_19
.LBB64_15:
                                        ; implicit-def: $vgpr4_vgpr5
.LBB64_16:
	s_and_not1_b32 vcc_lo, exec_lo, s11
	s_cbranch_vccnz .LBB64_18
; %bb.17:
	v_mul_u64_e32 v[8:9], s[2:3], v[8:9]
.LBB64_18:
	s_delay_alu instid0(VALU_DEP_1)
	v_mov_b64_e32 v[4:5], v[8:9]
.LBB64_19:
	s_cmp_eq_u32 s15, 1
	s_cselect_b32 s12, -1, 0
	s_cmp_eq_u32 s13, 0x6f
	s_cselect_b32 s14, -1, 0
	s_cmp_lg_u32 s13, 0x6f
	s_cselect_b32 s11, -1, 0
	s_cmp_lg_u32 s15, 1
	s_cbranch_scc0 .LBB64_23
; %bb.20:
	v_mov_b64_e32 v[8:9], v[6:7]
	s_and_not1_b32 vcc_lo, exec_lo, s11
	s_cbranch_vccnz .LBB64_22
; %bb.21:
	v_mul_u64_e32 v[8:9], s[4:5], v[6:7]
.LBB64_22:
	s_cbranch_execz .LBB64_24
	s_branch .LBB64_27
.LBB64_23:
                                        ; implicit-def: $vgpr8_vgpr9
.LBB64_24:
	s_and_not1_b32 vcc_lo, exec_lo, s14
	s_cbranch_vccnz .LBB64_26
; %bb.25:
	v_mul_u64_e32 v[6:7], s[4:5], v[6:7]
.LBB64_26:
	s_delay_alu instid0(VALU_DEP_1)
	v_mov_b64_e32 v[8:9], v[6:7]
.LBB64_27:
	v_dual_mov_b32 v1, 0 :: v_dual_bitop2_b32 v0, 7, v0 bitop3:0x40
	s_mov_b32 s11, exec_lo
	s_delay_alu instid0(VALU_DEP_1)
	v_cmpx_gt_i64_e64 s[8:9], v[0:1]
	s_cbranch_execz .LBB64_31
; %bb.28:
	s_xor_b32 s7, s10, s7
	s_delay_alu instid0(VALU_DEP_3)
	v_lshlrev_b64_e32 v[8:9], 1, v[8:9]
	s_and_b32 s7, s7, exec_lo
	s_cselect_b32 s19, 0, s3
	s_cselect_b32 s18, 1, s2
	s_xor_b32 s2, s14, s12
	v_mul_u64_e32 v[12:13], s[18:19], v[0:1]
	s_and_b32 s2, s2, exec_lo
	s_cselect_b32 s3, s5, 0
	s_cselect_b32 s2, s4, 1
	s_clause 0x1
	s_load_b64 s[4:5], s[0:1], 0x48
	s_load_b64 s[12:13], s[0:1], 0x38
	v_mul_u64_e32 v[6:7], s[2:3], v[0:1]
	v_lshlrev_b64_e32 v[4:5], 1, v[4:5]
	v_mov_b32_e32 v11, 0
	s_mov_b32 s7, 0
	s_lshl_b64 s[2:3], s[2:3], 4
	s_delay_alu instid0(VALU_DEP_3) | instskip(NEXT) | instid1(VALU_DEP_3)
	v_lshl_add_u64 v[6:7], v[6:7], 1, v[8:9]
	v_lshl_add_u64 v[8:9], v[12:13], 1, v[4:5]
	s_wait_kmcnt 0x0
	s_delay_alu instid0(VALU_DEP_2) | instskip(NEXT) | instid1(VALU_DEP_2)
	v_add_nc_u64_e32 v[4:5], s[4:5], v[6:7]
	v_add_nc_u64_e32 v[6:7], s[12:13], v[8:9]
	v_mov_b64_e32 v[8:9], v[0:1]
	v_mov_b32_e32 v1, v11
	s_lshl_b64 s[4:5], s[18:19], 4
.LBB64_29:                              ; =>This Inner Loop Header: Depth=1
	global_load_u16 v11, v[6:7], off
	global_load_u16 v12, v[4:5], off
	v_add_nc_u64_e32 v[8:9], 8, v[8:9]
	s_wait_xcnt 0x0
	v_add_nc_u64_e32 v[4:5], s[2:3], v[4:5]
	v_add_nc_u64_e32 v[6:7], s[4:5], v[6:7]
	s_delay_alu instid0(VALU_DEP_3) | instskip(SKIP_3) | instid1(VALU_DEP_1)
	v_cmp_le_i64_e32 vcc_lo, s[8:9], v[8:9]
	s_or_b32 s7, vcc_lo, s7
	s_wait_loadcnt 0x0
	v_mul_f16_e32 v11, v11, v12
	v_cvt_f32_f16_e32 v11, v11
	s_delay_alu instid0(VALU_DEP_1)
	v_add_f32_e32 v1, v1, v11
	s_and_not1_b32 exec_lo, exec_lo, s7
	s_cbranch_execnz .LBB64_29
; %bb.30:
	s_or_b32 exec_lo, exec_lo, s7
.LBB64_31:
	s_delay_alu instid0(SALU_CYCLE_1) | instskip(SKIP_3) | instid1(VALU_DEP_1)
	s_or_b32 exec_lo, exec_lo, s11
	s_load_b64 s[0:1], s[0:1], 0x60
	v_lshlrev_b32_e32 v4, 5, v10
	s_mov_b32 s2, exec_lo
	v_lshl_or_b32 v5, v0, 2, v4
	ds_store_b32 v5, v1
	s_wait_dscnt 0x0
	s_barrier_signal -1
	s_barrier_wait -1
	v_cmpx_gt_u32_e32 4, v0
	s_cbranch_execz .LBB64_33
; %bb.32:
	ds_load_2addr_b32 v[6:7], v5 offset1:4
	s_wait_dscnt 0x0
	v_add_f32_e32 v1, v7, v6
	ds_store_b32 v5, v1
.LBB64_33:
	s_or_b32 exec_lo, exec_lo, s2
	s_delay_alu instid0(SALU_CYCLE_1)
	s_mov_b32 s2, exec_lo
	s_wait_dscnt 0x0
	s_barrier_signal -1
	s_barrier_wait -1
	v_cmpx_gt_u32_e32 2, v0
	s_cbranch_execz .LBB64_35
; %bb.34:
	ds_load_2addr_b32 v[6:7], v5 offset1:2
	s_wait_dscnt 0x0
	v_add_f32_e32 v1, v7, v6
	ds_store_b32 v5, v1
.LBB64_35:
	s_or_b32 exec_lo, exec_lo, s2
	v_cmp_eq_u32_e32 vcc_lo, 0, v0
	s_wait_dscnt 0x0
	s_barrier_signal -1
	s_barrier_wait -1
	s_and_saveexec_b32 s2, vcc_lo
	s_cbranch_execz .LBB64_37
; %bb.36:
	ds_load_2addr_b32 v[0:1], v5 offset1:1
	s_wait_dscnt 0x0
	v_add_f32_e32 v0, v1, v0
	ds_store_b32 v5, v0
.LBB64_37:
	s_or_b32 exec_lo, exec_lo, s2
	s_wait_dscnt 0x0
	s_barrier_signal -1
	s_barrier_wait -1
	s_and_b32 exec_lo, exec_lo, vcc_lo
	s_cbranch_execz .LBB64_39
; %bb.38:
	s_wait_kmcnt 0x0
	v_lshl_add_u64 v[0:1], v[2:3], 2, s[0:1]
	ds_load_b32 v3, v4
	v_dual_mov_b32 v4, s6 :: v_dual_mov_b32 v5, s16
	global_load_b32 v2, v[0:1], off
	s_wait_loadcnt_dscnt 0x0
	v_pk_mul_f32 v[2:3], v[4:5], v[2:3]
	s_delay_alu instid0(VALU_DEP_1)
	v_add_f32_e32 v2, v2, v3
	global_store_b32 v[0:1], v2, off
.LBB64_39:
	s_endpgm
	.section	.rodata,"a",@progbits
	.p2align	6, 0x0
	.amdhsa_kernel _ZN9rocsparseL16sddmm_ell_kernelILi512ELi8EfllDF16_DF16_fEEv20rocsparse_operation_S1_16rocsparse_order_S2_T3_S3_S3_T2_NS_24const_host_device_scalarIT1_EEPKT4_lPKT5_lS7_PT6_PKS3_21rocsparse_index_base_b
		.amdhsa_group_segment_fixed_size 2048
		.amdhsa_private_segment_fixed_size 0
		.amdhsa_kernarg_size 120
		.amdhsa_user_sgpr_count 2
		.amdhsa_user_sgpr_dispatch_ptr 0
		.amdhsa_user_sgpr_queue_ptr 0
		.amdhsa_user_sgpr_kernarg_segment_ptr 1
		.amdhsa_user_sgpr_dispatch_id 0
		.amdhsa_user_sgpr_kernarg_preload_length 0
		.amdhsa_user_sgpr_kernarg_preload_offset 0
		.amdhsa_user_sgpr_private_segment_size 0
		.amdhsa_wavefront_size32 1
		.amdhsa_uses_dynamic_stack 0
		.amdhsa_enable_private_segment 0
		.amdhsa_system_sgpr_workgroup_id_x 1
		.amdhsa_system_sgpr_workgroup_id_y 0
		.amdhsa_system_sgpr_workgroup_id_z 0
		.amdhsa_system_sgpr_workgroup_info 0
		.amdhsa_system_vgpr_workitem_id 0
		.amdhsa_next_free_vgpr 16
		.amdhsa_next_free_sgpr 28
		.amdhsa_named_barrier_count 0
		.amdhsa_reserve_vcc 1
		.amdhsa_float_round_mode_32 0
		.amdhsa_float_round_mode_16_64 0
		.amdhsa_float_denorm_mode_32 3
		.amdhsa_float_denorm_mode_16_64 3
		.amdhsa_fp16_overflow 0
		.amdhsa_memory_ordered 1
		.amdhsa_forward_progress 1
		.amdhsa_inst_pref_size 14
		.amdhsa_round_robin_scheduling 0
		.amdhsa_exception_fp_ieee_invalid_op 0
		.amdhsa_exception_fp_denorm_src 0
		.amdhsa_exception_fp_ieee_div_zero 0
		.amdhsa_exception_fp_ieee_overflow 0
		.amdhsa_exception_fp_ieee_underflow 0
		.amdhsa_exception_fp_ieee_inexact 0
		.amdhsa_exception_int_div_zero 0
	.end_amdhsa_kernel
	.section	.text._ZN9rocsparseL16sddmm_ell_kernelILi512ELi8EfllDF16_DF16_fEEv20rocsparse_operation_S1_16rocsparse_order_S2_T3_S3_S3_T2_NS_24const_host_device_scalarIT1_EEPKT4_lPKT5_lS7_PT6_PKS3_21rocsparse_index_base_b,"axG",@progbits,_ZN9rocsparseL16sddmm_ell_kernelILi512ELi8EfllDF16_DF16_fEEv20rocsparse_operation_S1_16rocsparse_order_S2_T3_S3_S3_T2_NS_24const_host_device_scalarIT1_EEPKT4_lPKT5_lS7_PT6_PKS3_21rocsparse_index_base_b,comdat
.Lfunc_end64:
	.size	_ZN9rocsparseL16sddmm_ell_kernelILi512ELi8EfllDF16_DF16_fEEv20rocsparse_operation_S1_16rocsparse_order_S2_T3_S3_S3_T2_NS_24const_host_device_scalarIT1_EEPKT4_lPKT5_lS7_PT6_PKS3_21rocsparse_index_base_b, .Lfunc_end64-_ZN9rocsparseL16sddmm_ell_kernelILi512ELi8EfllDF16_DF16_fEEv20rocsparse_operation_S1_16rocsparse_order_S2_T3_S3_S3_T2_NS_24const_host_device_scalarIT1_EEPKT4_lPKT5_lS7_PT6_PKS3_21rocsparse_index_base_b
                                        ; -- End function
	.set _ZN9rocsparseL16sddmm_ell_kernelILi512ELi8EfllDF16_DF16_fEEv20rocsparse_operation_S1_16rocsparse_order_S2_T3_S3_S3_T2_NS_24const_host_device_scalarIT1_EEPKT4_lPKT5_lS7_PT6_PKS3_21rocsparse_index_base_b.num_vgpr, 16
	.set _ZN9rocsparseL16sddmm_ell_kernelILi512ELi8EfllDF16_DF16_fEEv20rocsparse_operation_S1_16rocsparse_order_S2_T3_S3_S3_T2_NS_24const_host_device_scalarIT1_EEPKT4_lPKT5_lS7_PT6_PKS3_21rocsparse_index_base_b.num_agpr, 0
	.set _ZN9rocsparseL16sddmm_ell_kernelILi512ELi8EfllDF16_DF16_fEEv20rocsparse_operation_S1_16rocsparse_order_S2_T3_S3_S3_T2_NS_24const_host_device_scalarIT1_EEPKT4_lPKT5_lS7_PT6_PKS3_21rocsparse_index_base_b.numbered_sgpr, 28
	.set _ZN9rocsparseL16sddmm_ell_kernelILi512ELi8EfllDF16_DF16_fEEv20rocsparse_operation_S1_16rocsparse_order_S2_T3_S3_S3_T2_NS_24const_host_device_scalarIT1_EEPKT4_lPKT5_lS7_PT6_PKS3_21rocsparse_index_base_b.num_named_barrier, 0
	.set _ZN9rocsparseL16sddmm_ell_kernelILi512ELi8EfllDF16_DF16_fEEv20rocsparse_operation_S1_16rocsparse_order_S2_T3_S3_S3_T2_NS_24const_host_device_scalarIT1_EEPKT4_lPKT5_lS7_PT6_PKS3_21rocsparse_index_base_b.private_seg_size, 0
	.set _ZN9rocsparseL16sddmm_ell_kernelILi512ELi8EfllDF16_DF16_fEEv20rocsparse_operation_S1_16rocsparse_order_S2_T3_S3_S3_T2_NS_24const_host_device_scalarIT1_EEPKT4_lPKT5_lS7_PT6_PKS3_21rocsparse_index_base_b.uses_vcc, 1
	.set _ZN9rocsparseL16sddmm_ell_kernelILi512ELi8EfllDF16_DF16_fEEv20rocsparse_operation_S1_16rocsparse_order_S2_T3_S3_S3_T2_NS_24const_host_device_scalarIT1_EEPKT4_lPKT5_lS7_PT6_PKS3_21rocsparse_index_base_b.uses_flat_scratch, 0
	.set _ZN9rocsparseL16sddmm_ell_kernelILi512ELi8EfllDF16_DF16_fEEv20rocsparse_operation_S1_16rocsparse_order_S2_T3_S3_S3_T2_NS_24const_host_device_scalarIT1_EEPKT4_lPKT5_lS7_PT6_PKS3_21rocsparse_index_base_b.has_dyn_sized_stack, 0
	.set _ZN9rocsparseL16sddmm_ell_kernelILi512ELi8EfllDF16_DF16_fEEv20rocsparse_operation_S1_16rocsparse_order_S2_T3_S3_S3_T2_NS_24const_host_device_scalarIT1_EEPKT4_lPKT5_lS7_PT6_PKS3_21rocsparse_index_base_b.has_recursion, 0
	.set _ZN9rocsparseL16sddmm_ell_kernelILi512ELi8EfllDF16_DF16_fEEv20rocsparse_operation_S1_16rocsparse_order_S2_T3_S3_S3_T2_NS_24const_host_device_scalarIT1_EEPKT4_lPKT5_lS7_PT6_PKS3_21rocsparse_index_base_b.has_indirect_call, 0
	.section	.AMDGPU.csdata,"",@progbits
; Kernel info:
; codeLenInByte = 1756
; TotalNumSgprs: 30
; NumVgprs: 16
; ScratchSize: 0
; MemoryBound: 0
; FloatMode: 240
; IeeeMode: 1
; LDSByteSize: 2048 bytes/workgroup (compile time only)
; SGPRBlocks: 0
; VGPRBlocks: 0
; NumSGPRsForWavesPerEU: 30
; NumVGPRsForWavesPerEU: 16
; NamedBarCnt: 0
; Occupancy: 16
; WaveLimiterHint : 0
; COMPUTE_PGM_RSRC2:SCRATCH_EN: 0
; COMPUTE_PGM_RSRC2:USER_SGPR: 2
; COMPUTE_PGM_RSRC2:TRAP_HANDLER: 0
; COMPUTE_PGM_RSRC2:TGID_X_EN: 1
; COMPUTE_PGM_RSRC2:TGID_Y_EN: 0
; COMPUTE_PGM_RSRC2:TGID_Z_EN: 0
; COMPUTE_PGM_RSRC2:TIDIG_COMP_CNT: 0
	.section	.text._ZN9rocsparseL16sddmm_ell_kernelILi512ELi4EfllDF16_DF16_fEEv20rocsparse_operation_S1_16rocsparse_order_S2_T3_S3_S3_T2_NS_24const_host_device_scalarIT1_EEPKT4_lPKT5_lS7_PT6_PKS3_21rocsparse_index_base_b,"axG",@progbits,_ZN9rocsparseL16sddmm_ell_kernelILi512ELi4EfllDF16_DF16_fEEv20rocsparse_operation_S1_16rocsparse_order_S2_T3_S3_S3_T2_NS_24const_host_device_scalarIT1_EEPKT4_lPKT5_lS7_PT6_PKS3_21rocsparse_index_base_b,comdat
	.globl	_ZN9rocsparseL16sddmm_ell_kernelILi512ELi4EfllDF16_DF16_fEEv20rocsparse_operation_S1_16rocsparse_order_S2_T3_S3_S3_T2_NS_24const_host_device_scalarIT1_EEPKT4_lPKT5_lS7_PT6_PKS3_21rocsparse_index_base_b ; -- Begin function _ZN9rocsparseL16sddmm_ell_kernelILi512ELi4EfllDF16_DF16_fEEv20rocsparse_operation_S1_16rocsparse_order_S2_T3_S3_S3_T2_NS_24const_host_device_scalarIT1_EEPKT4_lPKT5_lS7_PT6_PKS3_21rocsparse_index_base_b
	.p2align	8
	.type	_ZN9rocsparseL16sddmm_ell_kernelILi512ELi4EfllDF16_DF16_fEEv20rocsparse_operation_S1_16rocsparse_order_S2_T3_S3_S3_T2_NS_24const_host_device_scalarIT1_EEPKT4_lPKT5_lS7_PT6_PKS3_21rocsparse_index_base_b,@function
_ZN9rocsparseL16sddmm_ell_kernelILi512ELi4EfllDF16_DF16_fEEv20rocsparse_operation_S1_16rocsparse_order_S2_T3_S3_S3_T2_NS_24const_host_device_scalarIT1_EEPKT4_lPKT5_lS7_PT6_PKS3_21rocsparse_index_base_b: ; @_ZN9rocsparseL16sddmm_ell_kernelILi512ELi4EfllDF16_DF16_fEEv20rocsparse_operation_S1_16rocsparse_order_S2_T3_S3_S3_T2_NS_24const_host_device_scalarIT1_EEPKT4_lPKT5_lS7_PT6_PKS3_21rocsparse_index_base_b
; %bb.0:
	s_clause 0x2
	s_load_b64 s[12:13], s[0:1], 0x70
	s_load_b64 s[16:17], s[0:1], 0x30
	s_load_b128 s[4:7], s[0:1], 0x50
	s_wait_kmcnt 0x0
	s_bitcmp1_b32 s13, 0
	s_cselect_b32 s2, -1, 0
	s_delay_alu instid0(SALU_CYCLE_1)
	s_and_b32 vcc_lo, exec_lo, s2
	s_xor_b32 s2, s2, -1
	s_cbranch_vccnz .LBB65_2
; %bb.1:
	s_load_b32 s16, s[16:17], 0x0
.LBB65_2:
	s_and_not1_b32 vcc_lo, exec_lo, s2
	s_cbranch_vccnz .LBB65_4
; %bb.3:
	s_load_b32 s6, s[6:7], 0x0
.LBB65_4:
	s_wait_kmcnt 0x0
	s_cmp_eq_f32 s16, 0
	s_cselect_b32 s2, -1, 0
	s_cmp_eq_f32 s6, 1.0
	s_cselect_b32 s3, -1, 0
	s_delay_alu instid0(SALU_CYCLE_1) | instskip(NEXT) | instid1(SALU_CYCLE_1)
	s_and_b32 s2, s2, s3
	s_and_b32 vcc_lo, exec_lo, s2
	s_cbranch_vccnz .LBB65_37
; %bb.5:
	s_load_b128 s[8:11], s[0:1], 0x20
	s_bfe_u32 s2, ttmp6, 0x4000c
	s_and_b32 s3, ttmp6, 15
	s_add_co_i32 s2, s2, 1
	s_getreg_b32 s7, hwreg(HW_REG_IB_STS2, 6, 4)
	s_mul_i32 s2, ttmp9, s2
	v_dual_mov_b32 v3, 0 :: v_dual_lshrrev_b32 v10, 2, v0
	s_add_co_i32 s3, s3, s2
	s_cmp_eq_u32 s7, 0
	s_cselect_b32 s2, ttmp9, s3
	s_delay_alu instid0(VALU_DEP_1) | instid1(SALU_CYCLE_1)
	v_lshl_or_b32 v2, s2, 7, v10
	s_mov_b32 s2, exec_lo
	s_wait_kmcnt 0x0
	s_delay_alu instid0(VALU_DEP_1)
	v_cmpx_gt_i64_e64 s[10:11], v[2:3]
	s_cbranch_execz .LBB65_37
; %bb.6:
	s_load_b64 s[10:11], s[0:1], 0x10
                                        ; implicit-def: $vgpr8_vgpr9
	s_wait_kmcnt 0x0
	s_and_b64 s[2:3], s[10:11], 0xffffffff00000000
	s_delay_alu instid0(SALU_CYCLE_1) | instskip(SKIP_1) | instid1(SALU_CYCLE_1)
	s_cmp_lg_u64 s[2:3], 0
	s_cselect_b32 s2, -1, 0
	s_and_saveexec_b32 s3, s2
	s_delay_alu instid0(SALU_CYCLE_1)
	s_xor_b32 s3, exec_lo, s3
	s_cbranch_execz .LBB65_8
; %bb.7:
	s_ashr_i32 s14, s11, 31
	s_mov_b32 s25, 0
	s_mov_b32 s15, s14
	v_add_nc_u64_e32 v[4:5], 0, v[2:3]
	s_add_nc_u64 s[18:19], s[10:11], s[14:15]
	v_mov_b32_e32 v7, 0
	s_xor_b64 s[14:15], s[18:19], s[14:15]
	s_delay_alu instid0(SALU_CYCLE_1) | instskip(SKIP_3) | instid1(SALU_CYCLE_1)
	s_cvt_f32_u32 s2, s14
	s_cvt_f32_u32 s7, s15
	s_sub_nc_u64 s[20:21], 0, s[14:15]
	v_mov_b32_e32 v6, v4
	s_fmamk_f32 s2, s7, 0x4f800000, s2
	s_delay_alu instid0(SALU_CYCLE_3) | instskip(NEXT) | instid1(TRANS32_DEP_1)
	v_s_rcp_f32 s2, s2
	s_mul_f32 s2, s2, 0x5f7ffffc
	s_delay_alu instid0(SALU_CYCLE_3) | instskip(NEXT) | instid1(SALU_CYCLE_3)
	s_mul_f32 s7, s2, 0x2f800000
	s_trunc_f32 s7, s7
	s_delay_alu instid0(SALU_CYCLE_3) | instskip(SKIP_1) | instid1(SALU_CYCLE_2)
	s_fmamk_f32 s2, s7, 0xcf800000, s2
	s_cvt_u32_f32 s19, s7
	s_cvt_u32_f32 s18, s2
	s_delay_alu instid0(SALU_CYCLE_3) | instskip(NEXT) | instid1(SALU_CYCLE_1)
	s_mul_u64 s[22:23], s[20:21], s[18:19]
	s_mul_hi_u32 s27, s18, s23
	s_mul_i32 s26, s18, s23
	s_mul_hi_u32 s24, s18, s22
	s_mul_i32 s7, s19, s22
	s_add_nc_u64 s[26:27], s[24:25], s[26:27]
	s_mul_hi_u32 s2, s19, s22
	s_mul_hi_u32 s11, s19, s23
	s_add_co_u32 s7, s26, s7
	s_add_co_ci_u32 s24, s27, s2
	s_mul_i32 s22, s19, s23
	s_add_co_ci_u32 s23, s11, 0
	s_delay_alu instid0(SALU_CYCLE_1) | instskip(NEXT) | instid1(SALU_CYCLE_1)
	s_add_nc_u64 s[22:23], s[24:25], s[22:23]
	s_add_co_u32 s18, s18, s22
	s_cselect_b32 s2, -1, 0
	s_delay_alu instid0(SALU_CYCLE_1) | instskip(SKIP_1) | instid1(SALU_CYCLE_1)
	s_cmp_lg_u32 s2, 0
	s_add_co_ci_u32 s19, s19, s23
	s_mul_u64 s[20:21], s[20:21], s[18:19]
	s_delay_alu instid0(SALU_CYCLE_1)
	s_mul_hi_u32 s23, s18, s21
	s_mul_i32 s22, s18, s21
	s_mul_hi_u32 s24, s18, s20
	s_mul_i32 s7, s19, s20
	s_add_nc_u64 s[22:23], s[24:25], s[22:23]
	s_mul_hi_u32 s2, s19, s20
	s_mul_hi_u32 s11, s19, s21
	s_add_co_u32 s7, s22, s7
	s_add_co_ci_u32 s24, s23, s2
	s_mul_i32 s20, s19, s21
	s_add_co_ci_u32 s21, s11, 0
	s_delay_alu instid0(SALU_CYCLE_1) | instskip(NEXT) | instid1(SALU_CYCLE_1)
	s_add_nc_u64 s[20:21], s[24:25], s[20:21]
	s_add_co_u32 s2, s18, s20
	s_cselect_b32 s7, -1, 0
	s_delay_alu instid0(SALU_CYCLE_1)
	s_cmp_lg_u32 s7, 0
	s_add_co_ci_u32 s24, s19, s21
	s_mov_b64 s[18:19], 0xffffffff
	v_mul_u64_e32 v[8:9], s[24:25], v[6:7]
	v_mul_hi_u32 v6, v4, s2
	s_and_b64 s[18:19], s[2:3], s[18:19]
	s_delay_alu instid0(VALU_DEP_1) | instskip(SKIP_1) | instid1(VALU_DEP_1)
	v_add_nc_u64_e32 v[8:9], v[6:7], v[8:9]
	v_mov_b32_e32 v6, v5
	v_mul_u64_e32 v[12:13], s[18:19], v[6:7]
	v_mul_u64_e32 v[14:15], s[24:25], v[6:7]
	s_delay_alu instid0(VALU_DEP_2) | instskip(NEXT) | instid1(VALU_DEP_3)
	v_add_co_u32 v1, vcc_lo, v8, v12
	v_add_co_ci_u32_e32 v6, vcc_lo, v9, v13, vcc_lo
	s_delay_alu instid0(VALU_DEP_3) | instskip(NEXT) | instid1(VALU_DEP_1)
	v_add_co_ci_u32_e32 v15, vcc_lo, 0, v15, vcc_lo
	v_add_nc_u64_e32 v[6:7], v[6:7], v[14:15]
	s_delay_alu instid0(VALU_DEP_1) | instskip(NEXT) | instid1(VALU_DEP_1)
	v_mul_u64_e32 v[6:7], s[14:15], v[6:7]
	v_sub_nc_u32_e32 v1, v5, v7
	s_delay_alu instid0(VALU_DEP_2) | instskip(NEXT) | instid1(VALU_DEP_1)
	v_sub_co_u32 v4, vcc_lo, v4, v6
	v_sub_co_ci_u32_e64 v5, null, v5, v7, vcc_lo
	s_delay_alu instid0(VALU_DEP_3) | instskip(NEXT) | instid1(VALU_DEP_3)
	v_subrev_co_ci_u32_e64 v1, null, s15, v1, vcc_lo
	v_sub_co_u32 v6, vcc_lo, v4, s14
	v_cmp_le_u32_e64 s2, s14, v4
	s_delay_alu instid0(VALU_DEP_3) | instskip(SKIP_1) | instid1(VALU_DEP_3)
	v_subrev_co_ci_u32_e64 v7, null, 0, v1, vcc_lo
	v_subrev_co_ci_u32_e64 v1, null, s15, v1, vcc_lo
	v_cndmask_b32_e64 v8, 0, -1, s2
	v_cmp_le_u32_e64 s2, s14, v6
	v_cmp_le_u32_e32 vcc_lo, s15, v5
	s_delay_alu instid0(VALU_DEP_2) | instskip(SKIP_3) | instid1(VALU_DEP_3)
	v_cndmask_b32_e64 v9, 0, -1, s2
	v_cmp_le_u32_e64 s2, s15, v7
	v_cndmask_b32_e64 v12, 0, -1, vcc_lo
	v_cmp_eq_u32_e32 vcc_lo, s15, v7
	v_cndmask_b32_e64 v11, 0, -1, s2
	v_cmp_eq_u32_e64 s2, s15, v5
	s_delay_alu instid0(VALU_DEP_1) | instskip(SKIP_1) | instid1(VALU_DEP_1)
	v_dual_cndmask_b32 v9, v11, v9, vcc_lo :: v_dual_cndmask_b32 v8, v12, v8, s2
	v_sub_co_u32 v11, vcc_lo, v6, s14
	v_subrev_co_ci_u32_e64 v1, null, 0, v1, vcc_lo
	s_delay_alu instid0(VALU_DEP_3) | instskip(NEXT) | instid1(VALU_DEP_2)
	v_cmp_ne_u32_e32 vcc_lo, 0, v9
	v_dual_cndmask_b32 v1, v7, v1 :: v_dual_cndmask_b32 v6, v6, v11
	v_cmp_ne_u32_e32 vcc_lo, 0, v8
	s_delay_alu instid0(VALU_DEP_2) | instskip(NEXT) | instid1(VALU_DEP_1)
	v_dual_cndmask_b32 v5, v5, v1 :: v_dual_cndmask_b32 v4, v4, v6
	v_sub_nc_u64_e64 v[8:9], v[4:5], 0
.LBB65_8:
	s_or_saveexec_b32 s7, s3
	s_load_b64 s[2:3], s[0:1], 0x68
	s_xor_b32 exec_lo, exec_lo, s7
	s_cbranch_execz .LBB65_10
; %bb.9:
	v_cvt_f32_u32_e32 v1, s10
	s_sub_co_i32 s11, 0, s10
	v_mov_b32_e32 v9, 0
	s_delay_alu instid0(VALU_DEP_2) | instskip(SKIP_1) | instid1(TRANS32_DEP_1)
	v_rcp_iflag_f32_e32 v1, v1
	v_nop
	v_mul_f32_e32 v1, 0x4f7ffffe, v1
	s_delay_alu instid0(VALU_DEP_1) | instskip(NEXT) | instid1(VALU_DEP_1)
	v_cvt_u32_f32_e32 v1, v1
	v_mul_lo_u32 v4, s11, v1
	s_delay_alu instid0(VALU_DEP_1) | instskip(NEXT) | instid1(VALU_DEP_1)
	v_mul_hi_u32 v4, v1, v4
	v_add_nc_u32_e32 v1, v1, v4
	s_delay_alu instid0(VALU_DEP_1) | instskip(NEXT) | instid1(VALU_DEP_1)
	v_mul_hi_u32 v1, v2, v1
	v_mul_lo_u32 v1, v1, s10
	s_delay_alu instid0(VALU_DEP_1) | instskip(NEXT) | instid1(VALU_DEP_1)
	v_sub_nc_u32_e32 v1, v2, v1
	v_subrev_nc_u32_e32 v4, s10, v1
	v_cmp_le_u32_e32 vcc_lo, s10, v1
	s_delay_alu instid0(VALU_DEP_2) | instskip(NEXT) | instid1(VALU_DEP_1)
	v_cndmask_b32_e32 v1, v1, v4, vcc_lo
	v_subrev_nc_u32_e32 v4, s10, v1
	v_cmp_le_u32_e32 vcc_lo, s10, v1
	s_delay_alu instid0(VALU_DEP_2)
	v_cndmask_b32_e32 v8, v1, v4, vcc_lo
.LBB65_10:
	s_or_b32 exec_lo, exec_lo, s7
	s_wait_kmcnt 0x0
	v_lshl_add_u64 v[4:5], v[2:3], 3, s[2:3]
	s_mov_b32 s13, 0
	global_load_b64 v[4:5], v[4:5], off
	s_wait_loadcnt 0x0
	v_sub_nc_u64_e64 v[6:7], v[4:5], s[12:13]
	s_delay_alu instid0(VALU_DEP_1)
	v_cmp_lt_i64_e32 vcc_lo, -1, v[6:7]
	s_and_b32 exec_lo, exec_lo, vcc_lo
	s_cbranch_execz .LBB65_37
; %bb.11:
	s_clause 0x1
	s_load_b128 s[12:15], s[0:1], 0x0
	s_load_b64 s[2:3], s[0:1], 0x40
	s_wait_kmcnt 0x0
	s_cmp_eq_u32 s14, 1
	s_cselect_b32 s7, -1, 0
	s_cmp_eq_u32 s12, 0x6f
	s_cselect_b32 s10, -1, 0
	s_cmp_lg_u32 s12, 0x6f
	s_cselect_b32 s11, -1, 0
	s_cmp_lg_u32 s14, 1
	s_cbranch_scc0 .LBB65_15
; %bb.12:
	v_mov_b64_e32 v[4:5], v[8:9]
	s_and_not1_b32 vcc_lo, exec_lo, s10
	s_cbranch_vccnz .LBB65_14
; %bb.13:
	v_mul_u64_e32 v[4:5], s[2:3], v[8:9]
.LBB65_14:
	s_cbranch_execz .LBB65_16
	s_branch .LBB65_19
.LBB65_15:
                                        ; implicit-def: $vgpr4_vgpr5
.LBB65_16:
	s_and_not1_b32 vcc_lo, exec_lo, s11
	s_cbranch_vccnz .LBB65_18
; %bb.17:
	v_mul_u64_e32 v[8:9], s[2:3], v[8:9]
.LBB65_18:
	s_delay_alu instid0(VALU_DEP_1)
	v_mov_b64_e32 v[4:5], v[8:9]
.LBB65_19:
	s_cmp_eq_u32 s15, 1
	s_cselect_b32 s12, -1, 0
	s_cmp_eq_u32 s13, 0x6f
	s_cselect_b32 s14, -1, 0
	s_cmp_lg_u32 s13, 0x6f
	s_cselect_b32 s11, -1, 0
	s_cmp_lg_u32 s15, 1
	s_cbranch_scc0 .LBB65_23
; %bb.20:
	v_mov_b64_e32 v[8:9], v[6:7]
	s_and_not1_b32 vcc_lo, exec_lo, s11
	s_cbranch_vccnz .LBB65_22
; %bb.21:
	v_mul_u64_e32 v[8:9], s[4:5], v[6:7]
.LBB65_22:
	s_cbranch_execz .LBB65_24
	s_branch .LBB65_27
.LBB65_23:
                                        ; implicit-def: $vgpr8_vgpr9
.LBB65_24:
	s_and_not1_b32 vcc_lo, exec_lo, s14
	s_cbranch_vccnz .LBB65_26
; %bb.25:
	v_mul_u64_e32 v[6:7], s[4:5], v[6:7]
.LBB65_26:
	s_delay_alu instid0(VALU_DEP_1)
	v_mov_b64_e32 v[8:9], v[6:7]
.LBB65_27:
	v_dual_mov_b32 v1, 0 :: v_dual_bitop2_b32 v0, 3, v0 bitop3:0x40
	s_mov_b32 s11, exec_lo
	s_delay_alu instid0(VALU_DEP_1)
	v_cmpx_gt_i64_e64 s[8:9], v[0:1]
	s_cbranch_execz .LBB65_31
; %bb.28:
	s_xor_b32 s7, s10, s7
	s_delay_alu instid0(VALU_DEP_3)
	v_lshlrev_b64_e32 v[8:9], 1, v[8:9]
	s_and_b32 s7, s7, exec_lo
	s_cselect_b32 s19, 0, s3
	s_cselect_b32 s18, 1, s2
	s_xor_b32 s2, s14, s12
	v_mul_u64_e32 v[12:13], s[18:19], v[0:1]
	s_and_b32 s2, s2, exec_lo
	s_cselect_b32 s3, s5, 0
	s_cselect_b32 s2, s4, 1
	s_clause 0x1
	s_load_b64 s[4:5], s[0:1], 0x48
	s_load_b64 s[12:13], s[0:1], 0x38
	v_mul_u64_e32 v[6:7], s[2:3], v[0:1]
	v_lshlrev_b64_e32 v[4:5], 1, v[4:5]
	v_mov_b32_e32 v11, 0
	s_mov_b32 s7, 0
	s_lshl_b64 s[2:3], s[2:3], 3
	s_delay_alu instid0(VALU_DEP_3) | instskip(NEXT) | instid1(VALU_DEP_3)
	v_lshl_add_u64 v[6:7], v[6:7], 1, v[8:9]
	v_lshl_add_u64 v[8:9], v[12:13], 1, v[4:5]
	s_wait_kmcnt 0x0
	s_delay_alu instid0(VALU_DEP_2) | instskip(NEXT) | instid1(VALU_DEP_2)
	v_add_nc_u64_e32 v[4:5], s[4:5], v[6:7]
	v_add_nc_u64_e32 v[6:7], s[12:13], v[8:9]
	v_mov_b64_e32 v[8:9], v[0:1]
	v_mov_b32_e32 v1, v11
	s_lshl_b64 s[4:5], s[18:19], 3
.LBB65_29:                              ; =>This Inner Loop Header: Depth=1
	global_load_u16 v11, v[6:7], off
	global_load_u16 v12, v[4:5], off
	v_add_nc_u64_e32 v[8:9], 4, v[8:9]
	s_wait_xcnt 0x0
	v_add_nc_u64_e32 v[4:5], s[2:3], v[4:5]
	v_add_nc_u64_e32 v[6:7], s[4:5], v[6:7]
	s_delay_alu instid0(VALU_DEP_3) | instskip(SKIP_3) | instid1(VALU_DEP_1)
	v_cmp_le_i64_e32 vcc_lo, s[8:9], v[8:9]
	s_or_b32 s7, vcc_lo, s7
	s_wait_loadcnt 0x0
	v_mul_f16_e32 v11, v11, v12
	v_cvt_f32_f16_e32 v11, v11
	s_delay_alu instid0(VALU_DEP_1)
	v_add_f32_e32 v1, v1, v11
	s_and_not1_b32 exec_lo, exec_lo, s7
	s_cbranch_execnz .LBB65_29
; %bb.30:
	s_or_b32 exec_lo, exec_lo, s7
.LBB65_31:
	s_delay_alu instid0(SALU_CYCLE_1) | instskip(SKIP_3) | instid1(VALU_DEP_1)
	s_or_b32 exec_lo, exec_lo, s11
	s_load_b64 s[0:1], s[0:1], 0x60
	v_lshlrev_b32_e32 v4, 4, v10
	s_mov_b32 s2, exec_lo
	v_lshl_or_b32 v5, v0, 2, v4
	ds_store_b32 v5, v1
	s_wait_dscnt 0x0
	s_barrier_signal -1
	s_barrier_wait -1
	v_cmpx_gt_u32_e32 2, v0
	s_cbranch_execz .LBB65_33
; %bb.32:
	ds_load_2addr_b32 v[6:7], v5 offset1:2
	s_wait_dscnt 0x0
	v_add_f32_e32 v1, v7, v6
	ds_store_b32 v5, v1
.LBB65_33:
	s_or_b32 exec_lo, exec_lo, s2
	v_cmp_eq_u32_e32 vcc_lo, 0, v0
	s_wait_dscnt 0x0
	s_barrier_signal -1
	s_barrier_wait -1
	s_and_saveexec_b32 s2, vcc_lo
	s_cbranch_execz .LBB65_35
; %bb.34:
	ds_load_2addr_b32 v[0:1], v5 offset1:1
	s_wait_dscnt 0x0
	v_add_f32_e32 v0, v1, v0
	ds_store_b32 v5, v0
.LBB65_35:
	s_or_b32 exec_lo, exec_lo, s2
	s_wait_dscnt 0x0
	s_barrier_signal -1
	s_barrier_wait -1
	s_and_b32 exec_lo, exec_lo, vcc_lo
	s_cbranch_execz .LBB65_37
; %bb.36:
	s_wait_kmcnt 0x0
	v_lshl_add_u64 v[0:1], v[2:3], 2, s[0:1]
	ds_load_b32 v3, v4
	v_dual_mov_b32 v4, s6 :: v_dual_mov_b32 v5, s16
	global_load_b32 v2, v[0:1], off
	s_wait_loadcnt_dscnt 0x0
	v_pk_mul_f32 v[2:3], v[4:5], v[2:3]
	s_delay_alu instid0(VALU_DEP_1)
	v_add_f32_e32 v2, v2, v3
	global_store_b32 v[0:1], v2, off
.LBB65_37:
	s_endpgm
	.section	.rodata,"a",@progbits
	.p2align	6, 0x0
	.amdhsa_kernel _ZN9rocsparseL16sddmm_ell_kernelILi512ELi4EfllDF16_DF16_fEEv20rocsparse_operation_S1_16rocsparse_order_S2_T3_S3_S3_T2_NS_24const_host_device_scalarIT1_EEPKT4_lPKT5_lS7_PT6_PKS3_21rocsparse_index_base_b
		.amdhsa_group_segment_fixed_size 2048
		.amdhsa_private_segment_fixed_size 0
		.amdhsa_kernarg_size 120
		.amdhsa_user_sgpr_count 2
		.amdhsa_user_sgpr_dispatch_ptr 0
		.amdhsa_user_sgpr_queue_ptr 0
		.amdhsa_user_sgpr_kernarg_segment_ptr 1
		.amdhsa_user_sgpr_dispatch_id 0
		.amdhsa_user_sgpr_kernarg_preload_length 0
		.amdhsa_user_sgpr_kernarg_preload_offset 0
		.amdhsa_user_sgpr_private_segment_size 0
		.amdhsa_wavefront_size32 1
		.amdhsa_uses_dynamic_stack 0
		.amdhsa_enable_private_segment 0
		.amdhsa_system_sgpr_workgroup_id_x 1
		.amdhsa_system_sgpr_workgroup_id_y 0
		.amdhsa_system_sgpr_workgroup_id_z 0
		.amdhsa_system_sgpr_workgroup_info 0
		.amdhsa_system_vgpr_workitem_id 0
		.amdhsa_next_free_vgpr 16
		.amdhsa_next_free_sgpr 28
		.amdhsa_named_barrier_count 0
		.amdhsa_reserve_vcc 1
		.amdhsa_float_round_mode_32 0
		.amdhsa_float_round_mode_16_64 0
		.amdhsa_float_denorm_mode_32 3
		.amdhsa_float_denorm_mode_16_64 3
		.amdhsa_fp16_overflow 0
		.amdhsa_memory_ordered 1
		.amdhsa_forward_progress 1
		.amdhsa_inst_pref_size 14
		.amdhsa_round_robin_scheduling 0
		.amdhsa_exception_fp_ieee_invalid_op 0
		.amdhsa_exception_fp_denorm_src 0
		.amdhsa_exception_fp_ieee_div_zero 0
		.amdhsa_exception_fp_ieee_overflow 0
		.amdhsa_exception_fp_ieee_underflow 0
		.amdhsa_exception_fp_ieee_inexact 0
		.amdhsa_exception_int_div_zero 0
	.end_amdhsa_kernel
	.section	.text._ZN9rocsparseL16sddmm_ell_kernelILi512ELi4EfllDF16_DF16_fEEv20rocsparse_operation_S1_16rocsparse_order_S2_T3_S3_S3_T2_NS_24const_host_device_scalarIT1_EEPKT4_lPKT5_lS7_PT6_PKS3_21rocsparse_index_base_b,"axG",@progbits,_ZN9rocsparseL16sddmm_ell_kernelILi512ELi4EfllDF16_DF16_fEEv20rocsparse_operation_S1_16rocsparse_order_S2_T3_S3_S3_T2_NS_24const_host_device_scalarIT1_EEPKT4_lPKT5_lS7_PT6_PKS3_21rocsparse_index_base_b,comdat
.Lfunc_end65:
	.size	_ZN9rocsparseL16sddmm_ell_kernelILi512ELi4EfllDF16_DF16_fEEv20rocsparse_operation_S1_16rocsparse_order_S2_T3_S3_S3_T2_NS_24const_host_device_scalarIT1_EEPKT4_lPKT5_lS7_PT6_PKS3_21rocsparse_index_base_b, .Lfunc_end65-_ZN9rocsparseL16sddmm_ell_kernelILi512ELi4EfllDF16_DF16_fEEv20rocsparse_operation_S1_16rocsparse_order_S2_T3_S3_S3_T2_NS_24const_host_device_scalarIT1_EEPKT4_lPKT5_lS7_PT6_PKS3_21rocsparse_index_base_b
                                        ; -- End function
	.set _ZN9rocsparseL16sddmm_ell_kernelILi512ELi4EfllDF16_DF16_fEEv20rocsparse_operation_S1_16rocsparse_order_S2_T3_S3_S3_T2_NS_24const_host_device_scalarIT1_EEPKT4_lPKT5_lS7_PT6_PKS3_21rocsparse_index_base_b.num_vgpr, 16
	.set _ZN9rocsparseL16sddmm_ell_kernelILi512ELi4EfllDF16_DF16_fEEv20rocsparse_operation_S1_16rocsparse_order_S2_T3_S3_S3_T2_NS_24const_host_device_scalarIT1_EEPKT4_lPKT5_lS7_PT6_PKS3_21rocsparse_index_base_b.num_agpr, 0
	.set _ZN9rocsparseL16sddmm_ell_kernelILi512ELi4EfllDF16_DF16_fEEv20rocsparse_operation_S1_16rocsparse_order_S2_T3_S3_S3_T2_NS_24const_host_device_scalarIT1_EEPKT4_lPKT5_lS7_PT6_PKS3_21rocsparse_index_base_b.numbered_sgpr, 28
	.set _ZN9rocsparseL16sddmm_ell_kernelILi512ELi4EfllDF16_DF16_fEEv20rocsparse_operation_S1_16rocsparse_order_S2_T3_S3_S3_T2_NS_24const_host_device_scalarIT1_EEPKT4_lPKT5_lS7_PT6_PKS3_21rocsparse_index_base_b.num_named_barrier, 0
	.set _ZN9rocsparseL16sddmm_ell_kernelILi512ELi4EfllDF16_DF16_fEEv20rocsparse_operation_S1_16rocsparse_order_S2_T3_S3_S3_T2_NS_24const_host_device_scalarIT1_EEPKT4_lPKT5_lS7_PT6_PKS3_21rocsparse_index_base_b.private_seg_size, 0
	.set _ZN9rocsparseL16sddmm_ell_kernelILi512ELi4EfllDF16_DF16_fEEv20rocsparse_operation_S1_16rocsparse_order_S2_T3_S3_S3_T2_NS_24const_host_device_scalarIT1_EEPKT4_lPKT5_lS7_PT6_PKS3_21rocsparse_index_base_b.uses_vcc, 1
	.set _ZN9rocsparseL16sddmm_ell_kernelILi512ELi4EfllDF16_DF16_fEEv20rocsparse_operation_S1_16rocsparse_order_S2_T3_S3_S3_T2_NS_24const_host_device_scalarIT1_EEPKT4_lPKT5_lS7_PT6_PKS3_21rocsparse_index_base_b.uses_flat_scratch, 0
	.set _ZN9rocsparseL16sddmm_ell_kernelILi512ELi4EfllDF16_DF16_fEEv20rocsparse_operation_S1_16rocsparse_order_S2_T3_S3_S3_T2_NS_24const_host_device_scalarIT1_EEPKT4_lPKT5_lS7_PT6_PKS3_21rocsparse_index_base_b.has_dyn_sized_stack, 0
	.set _ZN9rocsparseL16sddmm_ell_kernelILi512ELi4EfllDF16_DF16_fEEv20rocsparse_operation_S1_16rocsparse_order_S2_T3_S3_S3_T2_NS_24const_host_device_scalarIT1_EEPKT4_lPKT5_lS7_PT6_PKS3_21rocsparse_index_base_b.has_recursion, 0
	.set _ZN9rocsparseL16sddmm_ell_kernelILi512ELi4EfllDF16_DF16_fEEv20rocsparse_operation_S1_16rocsparse_order_S2_T3_S3_S3_T2_NS_24const_host_device_scalarIT1_EEPKT4_lPKT5_lS7_PT6_PKS3_21rocsparse_index_base_b.has_indirect_call, 0
	.section	.AMDGPU.csdata,"",@progbits
; Kernel info:
; codeLenInByte = 1700
; TotalNumSgprs: 30
; NumVgprs: 16
; ScratchSize: 0
; MemoryBound: 0
; FloatMode: 240
; IeeeMode: 1
; LDSByteSize: 2048 bytes/workgroup (compile time only)
; SGPRBlocks: 0
; VGPRBlocks: 0
; NumSGPRsForWavesPerEU: 30
; NumVGPRsForWavesPerEU: 16
; NamedBarCnt: 0
; Occupancy: 16
; WaveLimiterHint : 0
; COMPUTE_PGM_RSRC2:SCRATCH_EN: 0
; COMPUTE_PGM_RSRC2:USER_SGPR: 2
; COMPUTE_PGM_RSRC2:TRAP_HANDLER: 0
; COMPUTE_PGM_RSRC2:TGID_X_EN: 1
; COMPUTE_PGM_RSRC2:TGID_Y_EN: 0
; COMPUTE_PGM_RSRC2:TGID_Z_EN: 0
; COMPUTE_PGM_RSRC2:TIDIG_COMP_CNT: 0
	.section	.text._ZN9rocsparseL16sddmm_ell_kernelILi512ELi2EfllDF16_DF16_fEEv20rocsparse_operation_S1_16rocsparse_order_S2_T3_S3_S3_T2_NS_24const_host_device_scalarIT1_EEPKT4_lPKT5_lS7_PT6_PKS3_21rocsparse_index_base_b,"axG",@progbits,_ZN9rocsparseL16sddmm_ell_kernelILi512ELi2EfllDF16_DF16_fEEv20rocsparse_operation_S1_16rocsparse_order_S2_T3_S3_S3_T2_NS_24const_host_device_scalarIT1_EEPKT4_lPKT5_lS7_PT6_PKS3_21rocsparse_index_base_b,comdat
	.globl	_ZN9rocsparseL16sddmm_ell_kernelILi512ELi2EfllDF16_DF16_fEEv20rocsparse_operation_S1_16rocsparse_order_S2_T3_S3_S3_T2_NS_24const_host_device_scalarIT1_EEPKT4_lPKT5_lS7_PT6_PKS3_21rocsparse_index_base_b ; -- Begin function _ZN9rocsparseL16sddmm_ell_kernelILi512ELi2EfllDF16_DF16_fEEv20rocsparse_operation_S1_16rocsparse_order_S2_T3_S3_S3_T2_NS_24const_host_device_scalarIT1_EEPKT4_lPKT5_lS7_PT6_PKS3_21rocsparse_index_base_b
	.p2align	8
	.type	_ZN9rocsparseL16sddmm_ell_kernelILi512ELi2EfllDF16_DF16_fEEv20rocsparse_operation_S1_16rocsparse_order_S2_T3_S3_S3_T2_NS_24const_host_device_scalarIT1_EEPKT4_lPKT5_lS7_PT6_PKS3_21rocsparse_index_base_b,@function
_ZN9rocsparseL16sddmm_ell_kernelILi512ELi2EfllDF16_DF16_fEEv20rocsparse_operation_S1_16rocsparse_order_S2_T3_S3_S3_T2_NS_24const_host_device_scalarIT1_EEPKT4_lPKT5_lS7_PT6_PKS3_21rocsparse_index_base_b: ; @_ZN9rocsparseL16sddmm_ell_kernelILi512ELi2EfllDF16_DF16_fEEv20rocsparse_operation_S1_16rocsparse_order_S2_T3_S3_S3_T2_NS_24const_host_device_scalarIT1_EEPKT4_lPKT5_lS7_PT6_PKS3_21rocsparse_index_base_b
; %bb.0:
	s_clause 0x2
	s_load_b64 s[12:13], s[0:1], 0x70
	s_load_b64 s[16:17], s[0:1], 0x30
	s_load_b128 s[4:7], s[0:1], 0x50
	s_wait_kmcnt 0x0
	s_bitcmp1_b32 s13, 0
	s_cselect_b32 s2, -1, 0
	s_delay_alu instid0(SALU_CYCLE_1)
	s_and_b32 vcc_lo, exec_lo, s2
	s_xor_b32 s2, s2, -1
	s_cbranch_vccnz .LBB66_2
; %bb.1:
	s_load_b32 s16, s[16:17], 0x0
.LBB66_2:
	s_and_not1_b32 vcc_lo, exec_lo, s2
	s_cbranch_vccnz .LBB66_4
; %bb.3:
	s_load_b32 s6, s[6:7], 0x0
.LBB66_4:
	s_wait_kmcnt 0x0
	s_cmp_eq_f32 s16, 0
	s_cselect_b32 s2, -1, 0
	s_cmp_eq_f32 s6, 1.0
	s_cselect_b32 s3, -1, 0
	s_delay_alu instid0(SALU_CYCLE_1) | instskip(NEXT) | instid1(SALU_CYCLE_1)
	s_and_b32 s2, s2, s3
	s_and_b32 vcc_lo, exec_lo, s2
	s_cbranch_vccnz .LBB66_35
; %bb.5:
	s_load_b128 s[8:11], s[0:1], 0x20
	s_bfe_u32 s2, ttmp6, 0x4000c
	s_and_b32 s3, ttmp6, 15
	s_add_co_i32 s2, s2, 1
	s_getreg_b32 s7, hwreg(HW_REG_IB_STS2, 6, 4)
	s_mul_i32 s2, ttmp9, s2
	v_dual_mov_b32 v3, 0 :: v_dual_lshrrev_b32 v10, 1, v0
	s_add_co_i32 s3, s3, s2
	s_cmp_eq_u32 s7, 0
	s_cselect_b32 s2, ttmp9, s3
	s_delay_alu instid0(VALU_DEP_1) | instid1(SALU_CYCLE_1)
	v_lshl_or_b32 v2, s2, 8, v10
	s_mov_b32 s2, exec_lo
	s_wait_kmcnt 0x0
	s_delay_alu instid0(VALU_DEP_1)
	v_cmpx_gt_i64_e64 s[10:11], v[2:3]
	s_cbranch_execz .LBB66_35
; %bb.6:
	s_load_b64 s[10:11], s[0:1], 0x10
                                        ; implicit-def: $vgpr8_vgpr9
	s_wait_kmcnt 0x0
	s_and_b64 s[2:3], s[10:11], 0xffffffff00000000
	s_delay_alu instid0(SALU_CYCLE_1) | instskip(SKIP_1) | instid1(SALU_CYCLE_1)
	s_cmp_lg_u64 s[2:3], 0
	s_cselect_b32 s2, -1, 0
	s_and_saveexec_b32 s3, s2
	s_delay_alu instid0(SALU_CYCLE_1)
	s_xor_b32 s3, exec_lo, s3
	s_cbranch_execz .LBB66_8
; %bb.7:
	s_ashr_i32 s14, s11, 31
	s_mov_b32 s25, 0
	s_mov_b32 s15, s14
	v_add_nc_u64_e32 v[4:5], 0, v[2:3]
	s_add_nc_u64 s[18:19], s[10:11], s[14:15]
	v_mov_b32_e32 v7, 0
	s_xor_b64 s[14:15], s[18:19], s[14:15]
	s_delay_alu instid0(SALU_CYCLE_1) | instskip(SKIP_3) | instid1(SALU_CYCLE_1)
	s_cvt_f32_u32 s2, s14
	s_cvt_f32_u32 s7, s15
	s_sub_nc_u64 s[20:21], 0, s[14:15]
	v_mov_b32_e32 v6, v4
	s_fmamk_f32 s2, s7, 0x4f800000, s2
	s_delay_alu instid0(SALU_CYCLE_3) | instskip(NEXT) | instid1(TRANS32_DEP_1)
	v_s_rcp_f32 s2, s2
	s_mul_f32 s2, s2, 0x5f7ffffc
	s_delay_alu instid0(SALU_CYCLE_3) | instskip(NEXT) | instid1(SALU_CYCLE_3)
	s_mul_f32 s7, s2, 0x2f800000
	s_trunc_f32 s7, s7
	s_delay_alu instid0(SALU_CYCLE_3) | instskip(SKIP_1) | instid1(SALU_CYCLE_2)
	s_fmamk_f32 s2, s7, 0xcf800000, s2
	s_cvt_u32_f32 s19, s7
	s_cvt_u32_f32 s18, s2
	s_delay_alu instid0(SALU_CYCLE_3) | instskip(NEXT) | instid1(SALU_CYCLE_1)
	s_mul_u64 s[22:23], s[20:21], s[18:19]
	s_mul_hi_u32 s27, s18, s23
	s_mul_i32 s26, s18, s23
	s_mul_hi_u32 s24, s18, s22
	s_mul_i32 s7, s19, s22
	s_add_nc_u64 s[26:27], s[24:25], s[26:27]
	s_mul_hi_u32 s2, s19, s22
	s_mul_hi_u32 s11, s19, s23
	s_add_co_u32 s7, s26, s7
	s_add_co_ci_u32 s24, s27, s2
	s_mul_i32 s22, s19, s23
	s_add_co_ci_u32 s23, s11, 0
	s_delay_alu instid0(SALU_CYCLE_1) | instskip(NEXT) | instid1(SALU_CYCLE_1)
	s_add_nc_u64 s[22:23], s[24:25], s[22:23]
	s_add_co_u32 s18, s18, s22
	s_cselect_b32 s2, -1, 0
	s_delay_alu instid0(SALU_CYCLE_1) | instskip(SKIP_1) | instid1(SALU_CYCLE_1)
	s_cmp_lg_u32 s2, 0
	s_add_co_ci_u32 s19, s19, s23
	s_mul_u64 s[20:21], s[20:21], s[18:19]
	s_delay_alu instid0(SALU_CYCLE_1)
	s_mul_hi_u32 s23, s18, s21
	s_mul_i32 s22, s18, s21
	s_mul_hi_u32 s24, s18, s20
	s_mul_i32 s7, s19, s20
	s_add_nc_u64 s[22:23], s[24:25], s[22:23]
	s_mul_hi_u32 s2, s19, s20
	s_mul_hi_u32 s11, s19, s21
	s_add_co_u32 s7, s22, s7
	s_add_co_ci_u32 s24, s23, s2
	s_mul_i32 s20, s19, s21
	s_add_co_ci_u32 s21, s11, 0
	s_delay_alu instid0(SALU_CYCLE_1) | instskip(NEXT) | instid1(SALU_CYCLE_1)
	s_add_nc_u64 s[20:21], s[24:25], s[20:21]
	s_add_co_u32 s2, s18, s20
	s_cselect_b32 s7, -1, 0
	s_delay_alu instid0(SALU_CYCLE_1)
	s_cmp_lg_u32 s7, 0
	s_add_co_ci_u32 s24, s19, s21
	s_mov_b64 s[18:19], 0xffffffff
	v_mul_u64_e32 v[8:9], s[24:25], v[6:7]
	v_mul_hi_u32 v6, v4, s2
	s_and_b64 s[18:19], s[2:3], s[18:19]
	s_delay_alu instid0(VALU_DEP_1) | instskip(SKIP_1) | instid1(VALU_DEP_1)
	v_add_nc_u64_e32 v[8:9], v[6:7], v[8:9]
	v_mov_b32_e32 v6, v5
	v_mul_u64_e32 v[12:13], s[18:19], v[6:7]
	v_mul_u64_e32 v[14:15], s[24:25], v[6:7]
	s_delay_alu instid0(VALU_DEP_2) | instskip(NEXT) | instid1(VALU_DEP_3)
	v_add_co_u32 v1, vcc_lo, v8, v12
	v_add_co_ci_u32_e32 v6, vcc_lo, v9, v13, vcc_lo
	s_delay_alu instid0(VALU_DEP_3) | instskip(NEXT) | instid1(VALU_DEP_1)
	v_add_co_ci_u32_e32 v15, vcc_lo, 0, v15, vcc_lo
	v_add_nc_u64_e32 v[6:7], v[6:7], v[14:15]
	s_delay_alu instid0(VALU_DEP_1) | instskip(NEXT) | instid1(VALU_DEP_1)
	v_mul_u64_e32 v[6:7], s[14:15], v[6:7]
	v_sub_nc_u32_e32 v1, v5, v7
	s_delay_alu instid0(VALU_DEP_2) | instskip(NEXT) | instid1(VALU_DEP_1)
	v_sub_co_u32 v4, vcc_lo, v4, v6
	v_sub_co_ci_u32_e64 v5, null, v5, v7, vcc_lo
	s_delay_alu instid0(VALU_DEP_3) | instskip(NEXT) | instid1(VALU_DEP_3)
	v_subrev_co_ci_u32_e64 v1, null, s15, v1, vcc_lo
	v_sub_co_u32 v6, vcc_lo, v4, s14
	v_cmp_le_u32_e64 s2, s14, v4
	s_delay_alu instid0(VALU_DEP_3) | instskip(SKIP_1) | instid1(VALU_DEP_3)
	v_subrev_co_ci_u32_e64 v7, null, 0, v1, vcc_lo
	v_subrev_co_ci_u32_e64 v1, null, s15, v1, vcc_lo
	v_cndmask_b32_e64 v8, 0, -1, s2
	v_cmp_le_u32_e64 s2, s14, v6
	v_cmp_le_u32_e32 vcc_lo, s15, v5
	s_delay_alu instid0(VALU_DEP_2) | instskip(SKIP_3) | instid1(VALU_DEP_3)
	v_cndmask_b32_e64 v9, 0, -1, s2
	v_cmp_le_u32_e64 s2, s15, v7
	v_cndmask_b32_e64 v12, 0, -1, vcc_lo
	v_cmp_eq_u32_e32 vcc_lo, s15, v7
	v_cndmask_b32_e64 v11, 0, -1, s2
	v_cmp_eq_u32_e64 s2, s15, v5
	s_delay_alu instid0(VALU_DEP_1) | instskip(SKIP_1) | instid1(VALU_DEP_1)
	v_dual_cndmask_b32 v9, v11, v9, vcc_lo :: v_dual_cndmask_b32 v8, v12, v8, s2
	v_sub_co_u32 v11, vcc_lo, v6, s14
	v_subrev_co_ci_u32_e64 v1, null, 0, v1, vcc_lo
	s_delay_alu instid0(VALU_DEP_3) | instskip(NEXT) | instid1(VALU_DEP_2)
	v_cmp_ne_u32_e32 vcc_lo, 0, v9
	v_dual_cndmask_b32 v1, v7, v1 :: v_dual_cndmask_b32 v6, v6, v11
	v_cmp_ne_u32_e32 vcc_lo, 0, v8
	s_delay_alu instid0(VALU_DEP_2) | instskip(NEXT) | instid1(VALU_DEP_1)
	v_dual_cndmask_b32 v5, v5, v1 :: v_dual_cndmask_b32 v4, v4, v6
	v_sub_nc_u64_e64 v[8:9], v[4:5], 0
.LBB66_8:
	s_or_saveexec_b32 s7, s3
	s_load_b64 s[2:3], s[0:1], 0x68
	s_xor_b32 exec_lo, exec_lo, s7
	s_cbranch_execz .LBB66_10
; %bb.9:
	v_cvt_f32_u32_e32 v1, s10
	s_sub_co_i32 s11, 0, s10
	v_mov_b32_e32 v9, 0
	s_delay_alu instid0(VALU_DEP_2) | instskip(SKIP_1) | instid1(TRANS32_DEP_1)
	v_rcp_iflag_f32_e32 v1, v1
	v_nop
	v_mul_f32_e32 v1, 0x4f7ffffe, v1
	s_delay_alu instid0(VALU_DEP_1) | instskip(NEXT) | instid1(VALU_DEP_1)
	v_cvt_u32_f32_e32 v1, v1
	v_mul_lo_u32 v4, s11, v1
	s_delay_alu instid0(VALU_DEP_1) | instskip(NEXT) | instid1(VALU_DEP_1)
	v_mul_hi_u32 v4, v1, v4
	v_add_nc_u32_e32 v1, v1, v4
	s_delay_alu instid0(VALU_DEP_1) | instskip(NEXT) | instid1(VALU_DEP_1)
	v_mul_hi_u32 v1, v2, v1
	v_mul_lo_u32 v1, v1, s10
	s_delay_alu instid0(VALU_DEP_1) | instskip(NEXT) | instid1(VALU_DEP_1)
	v_sub_nc_u32_e32 v1, v2, v1
	v_subrev_nc_u32_e32 v4, s10, v1
	v_cmp_le_u32_e32 vcc_lo, s10, v1
	s_delay_alu instid0(VALU_DEP_2) | instskip(NEXT) | instid1(VALU_DEP_1)
	v_cndmask_b32_e32 v1, v1, v4, vcc_lo
	v_subrev_nc_u32_e32 v4, s10, v1
	v_cmp_le_u32_e32 vcc_lo, s10, v1
	s_delay_alu instid0(VALU_DEP_2)
	v_cndmask_b32_e32 v8, v1, v4, vcc_lo
.LBB66_10:
	s_or_b32 exec_lo, exec_lo, s7
	s_wait_kmcnt 0x0
	v_lshl_add_u64 v[4:5], v[2:3], 3, s[2:3]
	s_mov_b32 s13, 0
	global_load_b64 v[4:5], v[4:5], off
	s_wait_loadcnt 0x0
	v_sub_nc_u64_e64 v[6:7], v[4:5], s[12:13]
	s_delay_alu instid0(VALU_DEP_1)
	v_cmp_lt_i64_e32 vcc_lo, -1, v[6:7]
	s_and_b32 exec_lo, exec_lo, vcc_lo
	s_cbranch_execz .LBB66_35
; %bb.11:
	s_clause 0x1
	s_load_b128 s[12:15], s[0:1], 0x0
	s_load_b64 s[2:3], s[0:1], 0x40
	s_wait_kmcnt 0x0
	s_cmp_eq_u32 s14, 1
	s_cselect_b32 s7, -1, 0
	s_cmp_eq_u32 s12, 0x6f
	s_cselect_b32 s10, -1, 0
	s_cmp_lg_u32 s12, 0x6f
	s_cselect_b32 s11, -1, 0
	s_cmp_lg_u32 s14, 1
	s_cbranch_scc0 .LBB66_15
; %bb.12:
	v_mov_b64_e32 v[4:5], v[8:9]
	s_and_not1_b32 vcc_lo, exec_lo, s10
	s_cbranch_vccnz .LBB66_14
; %bb.13:
	v_mul_u64_e32 v[4:5], s[2:3], v[8:9]
.LBB66_14:
	s_cbranch_execz .LBB66_16
	s_branch .LBB66_19
.LBB66_15:
                                        ; implicit-def: $vgpr4_vgpr5
.LBB66_16:
	s_and_not1_b32 vcc_lo, exec_lo, s11
	s_cbranch_vccnz .LBB66_18
; %bb.17:
	v_mul_u64_e32 v[8:9], s[2:3], v[8:9]
.LBB66_18:
	s_delay_alu instid0(VALU_DEP_1)
	v_mov_b64_e32 v[4:5], v[8:9]
.LBB66_19:
	s_cmp_eq_u32 s15, 1
	s_cselect_b32 s12, -1, 0
	s_cmp_eq_u32 s13, 0x6f
	s_cselect_b32 s14, -1, 0
	s_cmp_lg_u32 s13, 0x6f
	s_cselect_b32 s11, -1, 0
	s_cmp_lg_u32 s15, 1
	s_cbranch_scc0 .LBB66_23
; %bb.20:
	v_mov_b64_e32 v[8:9], v[6:7]
	s_and_not1_b32 vcc_lo, exec_lo, s11
	s_cbranch_vccnz .LBB66_22
; %bb.21:
	v_mul_u64_e32 v[8:9], s[4:5], v[6:7]
.LBB66_22:
	s_cbranch_execz .LBB66_24
	s_branch .LBB66_27
.LBB66_23:
                                        ; implicit-def: $vgpr8_vgpr9
.LBB66_24:
	s_and_not1_b32 vcc_lo, exec_lo, s14
	s_cbranch_vccnz .LBB66_26
; %bb.25:
	v_mul_u64_e32 v[6:7], s[4:5], v[6:7]
.LBB66_26:
	s_delay_alu instid0(VALU_DEP_1)
	v_mov_b64_e32 v[8:9], v[6:7]
.LBB66_27:
	v_dual_mov_b32 v1, 0 :: v_dual_bitop2_b32 v0, 1, v0 bitop3:0x40
	s_mov_b32 s11, exec_lo
	s_delay_alu instid0(VALU_DEP_1)
	v_cmpx_gt_i64_e64 s[8:9], v[0:1]
	s_cbranch_execz .LBB66_31
; %bb.28:
	s_xor_b32 s7, s10, s7
	s_delay_alu instid0(VALU_DEP_3)
	v_lshlrev_b64_e32 v[8:9], 1, v[8:9]
	s_and_b32 s7, s7, exec_lo
	s_cselect_b32 s19, 0, s3
	s_cselect_b32 s18, 1, s2
	s_xor_b32 s2, s14, s12
	v_mul_u64_e32 v[12:13], s[18:19], v[0:1]
	s_and_b32 s2, s2, exec_lo
	s_cselect_b32 s3, s5, 0
	s_cselect_b32 s2, s4, 1
	s_clause 0x1
	s_load_b64 s[4:5], s[0:1], 0x48
	s_load_b64 s[12:13], s[0:1], 0x38
	v_mul_u64_e32 v[6:7], s[2:3], v[0:1]
	v_lshlrev_b64_e32 v[4:5], 1, v[4:5]
	v_mov_b32_e32 v11, 0
	s_mov_b32 s7, 0
	s_lshl_b64 s[2:3], s[2:3], 2
	s_delay_alu instid0(VALU_DEP_3) | instskip(NEXT) | instid1(VALU_DEP_3)
	v_lshl_add_u64 v[6:7], v[6:7], 1, v[8:9]
	v_lshl_add_u64 v[8:9], v[12:13], 1, v[4:5]
	s_wait_kmcnt 0x0
	s_delay_alu instid0(VALU_DEP_2) | instskip(NEXT) | instid1(VALU_DEP_2)
	v_add_nc_u64_e32 v[4:5], s[4:5], v[6:7]
	v_add_nc_u64_e32 v[6:7], s[12:13], v[8:9]
	v_mov_b64_e32 v[8:9], v[0:1]
	v_mov_b32_e32 v1, v11
	s_lshl_b64 s[4:5], s[18:19], 2
.LBB66_29:                              ; =>This Inner Loop Header: Depth=1
	global_load_u16 v11, v[6:7], off
	global_load_u16 v12, v[4:5], off
	v_add_nc_u64_e32 v[8:9], 2, v[8:9]
	s_wait_xcnt 0x0
	v_add_nc_u64_e32 v[4:5], s[2:3], v[4:5]
	v_add_nc_u64_e32 v[6:7], s[4:5], v[6:7]
	s_delay_alu instid0(VALU_DEP_3) | instskip(SKIP_3) | instid1(VALU_DEP_1)
	v_cmp_le_i64_e32 vcc_lo, s[8:9], v[8:9]
	s_or_b32 s7, vcc_lo, s7
	s_wait_loadcnt 0x0
	v_mul_f16_e32 v11, v11, v12
	v_cvt_f32_f16_e32 v11, v11
	s_delay_alu instid0(VALU_DEP_1)
	v_add_f32_e32 v1, v1, v11
	s_and_not1_b32 exec_lo, exec_lo, s7
	s_cbranch_execnz .LBB66_29
; %bb.30:
	s_or_b32 exec_lo, exec_lo, s7
.LBB66_31:
	s_delay_alu instid0(SALU_CYCLE_1) | instskip(SKIP_3) | instid1(VALU_DEP_2)
	s_or_b32 exec_lo, exec_lo, s11
	s_load_b64 s[0:1], s[0:1], 0x60
	v_lshlrev_b32_e32 v4, 3, v10
	v_cmp_eq_u32_e32 vcc_lo, 0, v0
	v_lshl_or_b32 v5, v0, 2, v4
	ds_store_b32 v5, v1
	s_wait_dscnt 0x0
	s_barrier_signal -1
	s_barrier_wait -1
	s_and_saveexec_b32 s2, vcc_lo
	s_cbranch_execz .LBB66_33
; %bb.32:
	ds_load_b32 v0, v4 offset:4
	ds_load_b32 v1, v5
	s_wait_dscnt 0x0
	v_add_f32_e32 v0, v0, v1
	ds_store_b32 v5, v0
.LBB66_33:
	s_or_b32 exec_lo, exec_lo, s2
	s_wait_dscnt 0x0
	s_barrier_signal -1
	s_barrier_wait -1
	s_and_b32 exec_lo, exec_lo, vcc_lo
	s_cbranch_execz .LBB66_35
; %bb.34:
	s_wait_kmcnt 0x0
	v_lshl_add_u64 v[0:1], v[2:3], 2, s[0:1]
	ds_load_b32 v3, v4
	v_dual_mov_b32 v4, s6 :: v_dual_mov_b32 v5, s16
	global_load_b32 v2, v[0:1], off
	s_wait_loadcnt_dscnt 0x0
	v_pk_mul_f32 v[2:3], v[4:5], v[2:3]
	s_delay_alu instid0(VALU_DEP_1)
	v_add_f32_e32 v2, v2, v3
	global_store_b32 v[0:1], v2, off
.LBB66_35:
	s_endpgm
	.section	.rodata,"a",@progbits
	.p2align	6, 0x0
	.amdhsa_kernel _ZN9rocsparseL16sddmm_ell_kernelILi512ELi2EfllDF16_DF16_fEEv20rocsparse_operation_S1_16rocsparse_order_S2_T3_S3_S3_T2_NS_24const_host_device_scalarIT1_EEPKT4_lPKT5_lS7_PT6_PKS3_21rocsparse_index_base_b
		.amdhsa_group_segment_fixed_size 2048
		.amdhsa_private_segment_fixed_size 0
		.amdhsa_kernarg_size 120
		.amdhsa_user_sgpr_count 2
		.amdhsa_user_sgpr_dispatch_ptr 0
		.amdhsa_user_sgpr_queue_ptr 0
		.amdhsa_user_sgpr_kernarg_segment_ptr 1
		.amdhsa_user_sgpr_dispatch_id 0
		.amdhsa_user_sgpr_kernarg_preload_length 0
		.amdhsa_user_sgpr_kernarg_preload_offset 0
		.amdhsa_user_sgpr_private_segment_size 0
		.amdhsa_wavefront_size32 1
		.amdhsa_uses_dynamic_stack 0
		.amdhsa_enable_private_segment 0
		.amdhsa_system_sgpr_workgroup_id_x 1
		.amdhsa_system_sgpr_workgroup_id_y 0
		.amdhsa_system_sgpr_workgroup_id_z 0
		.amdhsa_system_sgpr_workgroup_info 0
		.amdhsa_system_vgpr_workitem_id 0
		.amdhsa_next_free_vgpr 16
		.amdhsa_next_free_sgpr 28
		.amdhsa_named_barrier_count 0
		.amdhsa_reserve_vcc 1
		.amdhsa_float_round_mode_32 0
		.amdhsa_float_round_mode_16_64 0
		.amdhsa_float_denorm_mode_32 3
		.amdhsa_float_denorm_mode_16_64 3
		.amdhsa_fp16_overflow 0
		.amdhsa_memory_ordered 1
		.amdhsa_forward_progress 1
		.amdhsa_inst_pref_size 13
		.amdhsa_round_robin_scheduling 0
		.amdhsa_exception_fp_ieee_invalid_op 0
		.amdhsa_exception_fp_denorm_src 0
		.amdhsa_exception_fp_ieee_div_zero 0
		.amdhsa_exception_fp_ieee_overflow 0
		.amdhsa_exception_fp_ieee_underflow 0
		.amdhsa_exception_fp_ieee_inexact 0
		.amdhsa_exception_int_div_zero 0
	.end_amdhsa_kernel
	.section	.text._ZN9rocsparseL16sddmm_ell_kernelILi512ELi2EfllDF16_DF16_fEEv20rocsparse_operation_S1_16rocsparse_order_S2_T3_S3_S3_T2_NS_24const_host_device_scalarIT1_EEPKT4_lPKT5_lS7_PT6_PKS3_21rocsparse_index_base_b,"axG",@progbits,_ZN9rocsparseL16sddmm_ell_kernelILi512ELi2EfllDF16_DF16_fEEv20rocsparse_operation_S1_16rocsparse_order_S2_T3_S3_S3_T2_NS_24const_host_device_scalarIT1_EEPKT4_lPKT5_lS7_PT6_PKS3_21rocsparse_index_base_b,comdat
.Lfunc_end66:
	.size	_ZN9rocsparseL16sddmm_ell_kernelILi512ELi2EfllDF16_DF16_fEEv20rocsparse_operation_S1_16rocsparse_order_S2_T3_S3_S3_T2_NS_24const_host_device_scalarIT1_EEPKT4_lPKT5_lS7_PT6_PKS3_21rocsparse_index_base_b, .Lfunc_end66-_ZN9rocsparseL16sddmm_ell_kernelILi512ELi2EfllDF16_DF16_fEEv20rocsparse_operation_S1_16rocsparse_order_S2_T3_S3_S3_T2_NS_24const_host_device_scalarIT1_EEPKT4_lPKT5_lS7_PT6_PKS3_21rocsparse_index_base_b
                                        ; -- End function
	.set _ZN9rocsparseL16sddmm_ell_kernelILi512ELi2EfllDF16_DF16_fEEv20rocsparse_operation_S1_16rocsparse_order_S2_T3_S3_S3_T2_NS_24const_host_device_scalarIT1_EEPKT4_lPKT5_lS7_PT6_PKS3_21rocsparse_index_base_b.num_vgpr, 16
	.set _ZN9rocsparseL16sddmm_ell_kernelILi512ELi2EfllDF16_DF16_fEEv20rocsparse_operation_S1_16rocsparse_order_S2_T3_S3_S3_T2_NS_24const_host_device_scalarIT1_EEPKT4_lPKT5_lS7_PT6_PKS3_21rocsparse_index_base_b.num_agpr, 0
	.set _ZN9rocsparseL16sddmm_ell_kernelILi512ELi2EfllDF16_DF16_fEEv20rocsparse_operation_S1_16rocsparse_order_S2_T3_S3_S3_T2_NS_24const_host_device_scalarIT1_EEPKT4_lPKT5_lS7_PT6_PKS3_21rocsparse_index_base_b.numbered_sgpr, 28
	.set _ZN9rocsparseL16sddmm_ell_kernelILi512ELi2EfllDF16_DF16_fEEv20rocsparse_operation_S1_16rocsparse_order_S2_T3_S3_S3_T2_NS_24const_host_device_scalarIT1_EEPKT4_lPKT5_lS7_PT6_PKS3_21rocsparse_index_base_b.num_named_barrier, 0
	.set _ZN9rocsparseL16sddmm_ell_kernelILi512ELi2EfllDF16_DF16_fEEv20rocsparse_operation_S1_16rocsparse_order_S2_T3_S3_S3_T2_NS_24const_host_device_scalarIT1_EEPKT4_lPKT5_lS7_PT6_PKS3_21rocsparse_index_base_b.private_seg_size, 0
	.set _ZN9rocsparseL16sddmm_ell_kernelILi512ELi2EfllDF16_DF16_fEEv20rocsparse_operation_S1_16rocsparse_order_S2_T3_S3_S3_T2_NS_24const_host_device_scalarIT1_EEPKT4_lPKT5_lS7_PT6_PKS3_21rocsparse_index_base_b.uses_vcc, 1
	.set _ZN9rocsparseL16sddmm_ell_kernelILi512ELi2EfllDF16_DF16_fEEv20rocsparse_operation_S1_16rocsparse_order_S2_T3_S3_S3_T2_NS_24const_host_device_scalarIT1_EEPKT4_lPKT5_lS7_PT6_PKS3_21rocsparse_index_base_b.uses_flat_scratch, 0
	.set _ZN9rocsparseL16sddmm_ell_kernelILi512ELi2EfllDF16_DF16_fEEv20rocsparse_operation_S1_16rocsparse_order_S2_T3_S3_S3_T2_NS_24const_host_device_scalarIT1_EEPKT4_lPKT5_lS7_PT6_PKS3_21rocsparse_index_base_b.has_dyn_sized_stack, 0
	.set _ZN9rocsparseL16sddmm_ell_kernelILi512ELi2EfllDF16_DF16_fEEv20rocsparse_operation_S1_16rocsparse_order_S2_T3_S3_S3_T2_NS_24const_host_device_scalarIT1_EEPKT4_lPKT5_lS7_PT6_PKS3_21rocsparse_index_base_b.has_recursion, 0
	.set _ZN9rocsparseL16sddmm_ell_kernelILi512ELi2EfllDF16_DF16_fEEv20rocsparse_operation_S1_16rocsparse_order_S2_T3_S3_S3_T2_NS_24const_host_device_scalarIT1_EEPKT4_lPKT5_lS7_PT6_PKS3_21rocsparse_index_base_b.has_indirect_call, 0
	.section	.AMDGPU.csdata,"",@progbits
; Kernel info:
; codeLenInByte = 1656
; TotalNumSgprs: 30
; NumVgprs: 16
; ScratchSize: 0
; MemoryBound: 0
; FloatMode: 240
; IeeeMode: 1
; LDSByteSize: 2048 bytes/workgroup (compile time only)
; SGPRBlocks: 0
; VGPRBlocks: 0
; NumSGPRsForWavesPerEU: 30
; NumVGPRsForWavesPerEU: 16
; NamedBarCnt: 0
; Occupancy: 16
; WaveLimiterHint : 0
; COMPUTE_PGM_RSRC2:SCRATCH_EN: 0
; COMPUTE_PGM_RSRC2:USER_SGPR: 2
; COMPUTE_PGM_RSRC2:TRAP_HANDLER: 0
; COMPUTE_PGM_RSRC2:TGID_X_EN: 1
; COMPUTE_PGM_RSRC2:TGID_Y_EN: 0
; COMPUTE_PGM_RSRC2:TGID_Z_EN: 0
; COMPUTE_PGM_RSRC2:TIDIG_COMP_CNT: 0
	.section	.text._ZN9rocsparseL16sddmm_ell_kernelILi512ELi1EfllDF16_DF16_fEEv20rocsparse_operation_S1_16rocsparse_order_S2_T3_S3_S3_T2_NS_24const_host_device_scalarIT1_EEPKT4_lPKT5_lS7_PT6_PKS3_21rocsparse_index_base_b,"axG",@progbits,_ZN9rocsparseL16sddmm_ell_kernelILi512ELi1EfllDF16_DF16_fEEv20rocsparse_operation_S1_16rocsparse_order_S2_T3_S3_S3_T2_NS_24const_host_device_scalarIT1_EEPKT4_lPKT5_lS7_PT6_PKS3_21rocsparse_index_base_b,comdat
	.globl	_ZN9rocsparseL16sddmm_ell_kernelILi512ELi1EfllDF16_DF16_fEEv20rocsparse_operation_S1_16rocsparse_order_S2_T3_S3_S3_T2_NS_24const_host_device_scalarIT1_EEPKT4_lPKT5_lS7_PT6_PKS3_21rocsparse_index_base_b ; -- Begin function _ZN9rocsparseL16sddmm_ell_kernelILi512ELi1EfllDF16_DF16_fEEv20rocsparse_operation_S1_16rocsparse_order_S2_T3_S3_S3_T2_NS_24const_host_device_scalarIT1_EEPKT4_lPKT5_lS7_PT6_PKS3_21rocsparse_index_base_b
	.p2align	8
	.type	_ZN9rocsparseL16sddmm_ell_kernelILi512ELi1EfllDF16_DF16_fEEv20rocsparse_operation_S1_16rocsparse_order_S2_T3_S3_S3_T2_NS_24const_host_device_scalarIT1_EEPKT4_lPKT5_lS7_PT6_PKS3_21rocsparse_index_base_b,@function
_ZN9rocsparseL16sddmm_ell_kernelILi512ELi1EfllDF16_DF16_fEEv20rocsparse_operation_S1_16rocsparse_order_S2_T3_S3_S3_T2_NS_24const_host_device_scalarIT1_EEPKT4_lPKT5_lS7_PT6_PKS3_21rocsparse_index_base_b: ; @_ZN9rocsparseL16sddmm_ell_kernelILi512ELi1EfllDF16_DF16_fEEv20rocsparse_operation_S1_16rocsparse_order_S2_T3_S3_S3_T2_NS_24const_host_device_scalarIT1_EEPKT4_lPKT5_lS7_PT6_PKS3_21rocsparse_index_base_b
; %bb.0:
	s_clause 0x2
	s_load_b64 s[12:13], s[0:1], 0x70
	s_load_b64 s[16:17], s[0:1], 0x30
	s_load_b128 s[4:7], s[0:1], 0x50
	s_wait_kmcnt 0x0
	s_bitcmp1_b32 s13, 0
	s_cselect_b32 s2, -1, 0
	s_delay_alu instid0(SALU_CYCLE_1)
	s_and_b32 vcc_lo, exec_lo, s2
	s_xor_b32 s2, s2, -1
	s_cbranch_vccnz .LBB67_2
; %bb.1:
	s_load_b32 s16, s[16:17], 0x0
.LBB67_2:
	s_and_not1_b32 vcc_lo, exec_lo, s2
	s_cbranch_vccnz .LBB67_4
; %bb.3:
	s_load_b32 s6, s[6:7], 0x0
.LBB67_4:
	s_wait_kmcnt 0x0
	s_cmp_eq_f32 s16, 0
	s_cselect_b32 s2, -1, 0
	s_cmp_eq_f32 s6, 1.0
	s_cselect_b32 s3, -1, 0
	s_delay_alu instid0(SALU_CYCLE_1) | instskip(NEXT) | instid1(SALU_CYCLE_1)
	s_and_b32 s2, s2, s3
	s_and_b32 vcc_lo, exec_lo, s2
	s_cbranch_vccnz .LBB67_32
; %bb.5:
	s_load_b128 s[8:11], s[0:1], 0x20
	s_bfe_u32 s2, ttmp6, 0x4000c
	s_and_b32 s3, ttmp6, 15
	s_add_co_i32 s2, s2, 1
	s_getreg_b32 s7, hwreg(HW_REG_IB_STS2, 6, 4)
	s_mul_i32 s2, ttmp9, s2
	v_mov_b32_e32 v3, 0
	s_add_co_i32 s3, s3, s2
	s_cmp_eq_u32 s7, 0
	s_cselect_b32 s2, ttmp9, s3
	s_delay_alu instid0(SALU_CYCLE_1) | instskip(SKIP_2) | instid1(VALU_DEP_1)
	v_lshl_or_b32 v2, s2, 9, v0
	s_mov_b32 s2, exec_lo
	s_wait_kmcnt 0x0
	v_cmpx_gt_i64_e64 s[10:11], v[2:3]
	s_cbranch_execz .LBB67_32
; %bb.6:
	s_load_b64 s[10:11], s[0:1], 0x10
                                        ; implicit-def: $vgpr8_vgpr9
	s_wait_kmcnt 0x0
	s_and_b64 s[2:3], s[10:11], 0xffffffff00000000
	s_delay_alu instid0(SALU_CYCLE_1) | instskip(SKIP_1) | instid1(SALU_CYCLE_1)
	s_cmp_lg_u64 s[2:3], 0
	s_cselect_b32 s2, -1, 0
	s_and_saveexec_b32 s3, s2
	s_delay_alu instid0(SALU_CYCLE_1)
	s_xor_b32 s3, exec_lo, s3
	s_cbranch_execz .LBB67_8
; %bb.7:
	s_ashr_i32 s14, s11, 31
	s_mov_b32 s25, 0
	s_mov_b32 s15, s14
	v_add_nc_u64_e32 v[4:5], 0, v[2:3]
	s_add_nc_u64 s[18:19], s[10:11], s[14:15]
	v_mov_b32_e32 v7, 0
	s_xor_b64 s[14:15], s[18:19], s[14:15]
	s_delay_alu instid0(SALU_CYCLE_1) | instskip(SKIP_3) | instid1(SALU_CYCLE_1)
	s_cvt_f32_u32 s2, s14
	s_cvt_f32_u32 s7, s15
	s_sub_nc_u64 s[20:21], 0, s[14:15]
	v_mov_b32_e32 v6, v4
	s_fmamk_f32 s2, s7, 0x4f800000, s2
	s_delay_alu instid0(SALU_CYCLE_3) | instskip(NEXT) | instid1(TRANS32_DEP_1)
	v_s_rcp_f32 s2, s2
	s_mul_f32 s2, s2, 0x5f7ffffc
	s_delay_alu instid0(SALU_CYCLE_3) | instskip(NEXT) | instid1(SALU_CYCLE_3)
	s_mul_f32 s7, s2, 0x2f800000
	s_trunc_f32 s7, s7
	s_delay_alu instid0(SALU_CYCLE_3) | instskip(SKIP_1) | instid1(SALU_CYCLE_2)
	s_fmamk_f32 s2, s7, 0xcf800000, s2
	s_cvt_u32_f32 s19, s7
	s_cvt_u32_f32 s18, s2
	s_delay_alu instid0(SALU_CYCLE_3) | instskip(NEXT) | instid1(SALU_CYCLE_1)
	s_mul_u64 s[22:23], s[20:21], s[18:19]
	s_mul_hi_u32 s27, s18, s23
	s_mul_i32 s26, s18, s23
	s_mul_hi_u32 s24, s18, s22
	s_mul_i32 s7, s19, s22
	s_add_nc_u64 s[26:27], s[24:25], s[26:27]
	s_mul_hi_u32 s2, s19, s22
	s_mul_hi_u32 s11, s19, s23
	s_add_co_u32 s7, s26, s7
	s_add_co_ci_u32 s24, s27, s2
	s_mul_i32 s22, s19, s23
	s_add_co_ci_u32 s23, s11, 0
	s_delay_alu instid0(SALU_CYCLE_1) | instskip(NEXT) | instid1(SALU_CYCLE_1)
	s_add_nc_u64 s[22:23], s[24:25], s[22:23]
	s_add_co_u32 s18, s18, s22
	s_cselect_b32 s2, -1, 0
	s_delay_alu instid0(SALU_CYCLE_1) | instskip(SKIP_1) | instid1(SALU_CYCLE_1)
	s_cmp_lg_u32 s2, 0
	s_add_co_ci_u32 s19, s19, s23
	s_mul_u64 s[20:21], s[20:21], s[18:19]
	s_delay_alu instid0(SALU_CYCLE_1)
	s_mul_hi_u32 s23, s18, s21
	s_mul_i32 s22, s18, s21
	s_mul_hi_u32 s24, s18, s20
	s_mul_i32 s7, s19, s20
	s_add_nc_u64 s[22:23], s[24:25], s[22:23]
	s_mul_hi_u32 s2, s19, s20
	s_mul_hi_u32 s11, s19, s21
	s_add_co_u32 s7, s22, s7
	s_add_co_ci_u32 s24, s23, s2
	s_mul_i32 s20, s19, s21
	s_add_co_ci_u32 s21, s11, 0
	s_delay_alu instid0(SALU_CYCLE_1) | instskip(NEXT) | instid1(SALU_CYCLE_1)
	s_add_nc_u64 s[20:21], s[24:25], s[20:21]
	s_add_co_u32 s2, s18, s20
	s_cselect_b32 s7, -1, 0
	s_delay_alu instid0(SALU_CYCLE_1)
	s_cmp_lg_u32 s7, 0
	s_add_co_ci_u32 s24, s19, s21
	s_mov_b64 s[18:19], 0xffffffff
	v_mul_u64_e32 v[8:9], s[24:25], v[6:7]
	v_mul_hi_u32 v6, v4, s2
	s_and_b64 s[18:19], s[2:3], s[18:19]
	s_delay_alu instid0(VALU_DEP_1) | instskip(SKIP_1) | instid1(VALU_DEP_1)
	v_add_nc_u64_e32 v[8:9], v[6:7], v[8:9]
	v_mov_b32_e32 v6, v5
	v_mul_u64_e32 v[10:11], s[18:19], v[6:7]
	v_mul_u64_e32 v[12:13], s[24:25], v[6:7]
	s_delay_alu instid0(VALU_DEP_2) | instskip(NEXT) | instid1(VALU_DEP_3)
	v_add_co_u32 v1, vcc_lo, v8, v10
	v_add_co_ci_u32_e32 v6, vcc_lo, v9, v11, vcc_lo
	s_delay_alu instid0(VALU_DEP_3) | instskip(NEXT) | instid1(VALU_DEP_1)
	v_add_co_ci_u32_e32 v13, vcc_lo, 0, v13, vcc_lo
	v_add_nc_u64_e32 v[6:7], v[6:7], v[12:13]
	s_delay_alu instid0(VALU_DEP_1) | instskip(NEXT) | instid1(VALU_DEP_1)
	v_mul_u64_e32 v[6:7], s[14:15], v[6:7]
	v_sub_nc_u32_e32 v1, v5, v7
	s_delay_alu instid0(VALU_DEP_2) | instskip(NEXT) | instid1(VALU_DEP_1)
	v_sub_co_u32 v4, vcc_lo, v4, v6
	v_sub_co_ci_u32_e64 v5, null, v5, v7, vcc_lo
	s_delay_alu instid0(VALU_DEP_3) | instskip(NEXT) | instid1(VALU_DEP_3)
	v_subrev_co_ci_u32_e64 v1, null, s15, v1, vcc_lo
	v_sub_co_u32 v6, vcc_lo, v4, s14
	v_cmp_le_u32_e64 s2, s14, v4
	s_delay_alu instid0(VALU_DEP_3) | instskip(SKIP_1) | instid1(VALU_DEP_3)
	v_subrev_co_ci_u32_e64 v7, null, 0, v1, vcc_lo
	v_subrev_co_ci_u32_e64 v1, null, s15, v1, vcc_lo
	v_cndmask_b32_e64 v8, 0, -1, s2
	v_cmp_le_u32_e64 s2, s14, v6
	v_cmp_le_u32_e32 vcc_lo, s15, v5
	s_delay_alu instid0(VALU_DEP_2) | instskip(SKIP_3) | instid1(VALU_DEP_3)
	v_cndmask_b32_e64 v9, 0, -1, s2
	v_cmp_le_u32_e64 s2, s15, v7
	v_cndmask_b32_e64 v11, 0, -1, vcc_lo
	v_cmp_eq_u32_e32 vcc_lo, s15, v7
	v_cndmask_b32_e64 v10, 0, -1, s2
	v_cmp_eq_u32_e64 s2, s15, v5
	s_delay_alu instid0(VALU_DEP_1) | instskip(SKIP_1) | instid1(VALU_DEP_1)
	v_dual_cndmask_b32 v9, v10, v9, vcc_lo :: v_dual_cndmask_b32 v8, v11, v8, s2
	v_sub_co_u32 v10, vcc_lo, v6, s14
	v_subrev_co_ci_u32_e64 v1, null, 0, v1, vcc_lo
	s_delay_alu instid0(VALU_DEP_3) | instskip(NEXT) | instid1(VALU_DEP_2)
	v_cmp_ne_u32_e32 vcc_lo, 0, v9
	v_dual_cndmask_b32 v1, v7, v1 :: v_dual_cndmask_b32 v6, v6, v10
	v_cmp_ne_u32_e32 vcc_lo, 0, v8
	s_delay_alu instid0(VALU_DEP_2) | instskip(NEXT) | instid1(VALU_DEP_1)
	v_dual_cndmask_b32 v5, v5, v1 :: v_dual_cndmask_b32 v4, v4, v6
	v_sub_nc_u64_e64 v[8:9], v[4:5], 0
.LBB67_8:
	s_or_saveexec_b32 s7, s3
	s_load_b64 s[2:3], s[0:1], 0x68
	s_xor_b32 exec_lo, exec_lo, s7
	s_cbranch_execz .LBB67_10
; %bb.9:
	v_cvt_f32_u32_e32 v1, s10
	s_sub_co_i32 s11, 0, s10
	v_mov_b32_e32 v9, 0
	s_delay_alu instid0(VALU_DEP_2) | instskip(SKIP_1) | instid1(TRANS32_DEP_1)
	v_rcp_iflag_f32_e32 v1, v1
	v_nop
	v_mul_f32_e32 v1, 0x4f7ffffe, v1
	s_delay_alu instid0(VALU_DEP_1) | instskip(NEXT) | instid1(VALU_DEP_1)
	v_cvt_u32_f32_e32 v1, v1
	v_mul_lo_u32 v4, s11, v1
	s_delay_alu instid0(VALU_DEP_1) | instskip(NEXT) | instid1(VALU_DEP_1)
	v_mul_hi_u32 v4, v1, v4
	v_add_nc_u32_e32 v1, v1, v4
	s_delay_alu instid0(VALU_DEP_1) | instskip(NEXT) | instid1(VALU_DEP_1)
	v_mul_hi_u32 v1, v2, v1
	v_mul_lo_u32 v1, v1, s10
	s_delay_alu instid0(VALU_DEP_1) | instskip(NEXT) | instid1(VALU_DEP_1)
	v_sub_nc_u32_e32 v1, v2, v1
	v_subrev_nc_u32_e32 v4, s10, v1
	v_cmp_le_u32_e32 vcc_lo, s10, v1
	s_delay_alu instid0(VALU_DEP_2) | instskip(NEXT) | instid1(VALU_DEP_1)
	v_cndmask_b32_e32 v1, v1, v4, vcc_lo
	v_subrev_nc_u32_e32 v4, s10, v1
	v_cmp_le_u32_e32 vcc_lo, s10, v1
	s_delay_alu instid0(VALU_DEP_2)
	v_cndmask_b32_e32 v8, v1, v4, vcc_lo
.LBB67_10:
	s_or_b32 exec_lo, exec_lo, s7
	s_wait_kmcnt 0x0
	v_lshl_add_u64 v[4:5], v[2:3], 3, s[2:3]
	s_mov_b32 s13, 0
	global_load_b64 v[4:5], v[4:5], off
	s_wait_loadcnt 0x0
	v_sub_nc_u64_e64 v[4:5], v[4:5], s[12:13]
	s_delay_alu instid0(VALU_DEP_1)
	v_cmp_lt_i64_e32 vcc_lo, -1, v[4:5]
	s_and_b32 exec_lo, exec_lo, vcc_lo
	s_cbranch_execz .LBB67_32
; %bb.11:
	s_clause 0x1
	s_load_b128 s[12:15], s[0:1], 0x0
	s_load_b64 s[2:3], s[0:1], 0x40
	s_wait_kmcnt 0x0
	s_cmp_eq_u32 s14, 1
	s_cselect_b32 s7, -1, 0
	s_cmp_eq_u32 s12, 0x6f
	s_cselect_b32 s10, -1, 0
	s_cmp_lg_u32 s12, 0x6f
	s_cselect_b32 s11, -1, 0
	s_cmp_lg_u32 s14, 1
	s_cbranch_scc0 .LBB67_15
; %bb.12:
	v_mov_b64_e32 v[6:7], v[8:9]
	s_and_not1_b32 vcc_lo, exec_lo, s10
	s_cbranch_vccnz .LBB67_14
; %bb.13:
	v_mul_u64_e32 v[6:7], s[2:3], v[8:9]
.LBB67_14:
	s_cbranch_execz .LBB67_16
	s_branch .LBB67_19
.LBB67_15:
                                        ; implicit-def: $vgpr6_vgpr7
.LBB67_16:
	s_and_not1_b32 vcc_lo, exec_lo, s11
	s_cbranch_vccnz .LBB67_18
; %bb.17:
	v_mul_u64_e32 v[8:9], s[2:3], v[8:9]
.LBB67_18:
	s_delay_alu instid0(VALU_DEP_1)
	v_mov_b64_e32 v[6:7], v[8:9]
.LBB67_19:
	s_cmp_eq_u32 s15, 1
	s_cselect_b32 s11, -1, 0
	s_cmp_eq_u32 s13, 0x6f
	s_cselect_b32 s12, -1, 0
	s_cmp_lg_u32 s13, 0x6f
	s_cselect_b32 s13, -1, 0
	s_cmp_lg_u32 s15, 1
	s_cbranch_scc0 .LBB67_23
; %bb.20:
	v_mov_b64_e32 v[8:9], v[4:5]
	s_and_not1_b32 vcc_lo, exec_lo, s13
	s_cbranch_vccnz .LBB67_22
; %bb.21:
	v_mul_u64_e32 v[8:9], s[4:5], v[4:5]
.LBB67_22:
	s_cbranch_execz .LBB67_24
	s_branch .LBB67_27
.LBB67_23:
                                        ; implicit-def: $vgpr8_vgpr9
.LBB67_24:
	s_and_not1_b32 vcc_lo, exec_lo, s12
	s_cbranch_vccnz .LBB67_26
; %bb.25:
	v_mul_u64_e32 v[4:5], s[4:5], v[4:5]
.LBB67_26:
	s_delay_alu instid0(VALU_DEP_1)
	v_mov_b64_e32 v[8:9], v[4:5]
.LBB67_27:
	v_cmp_lt_i64_e64 s13, s[8:9], 1
	s_and_b32 vcc_lo, exec_lo, s13
	s_cbranch_vccnz .LBB67_30
; %bb.28:
	s_clause 0x1
	s_load_b64 s[14:15], s[0:1], 0x48
	s_load_b64 s[18:19], s[0:1], 0x38
	s_xor_b32 s7, s10, s7
	v_mov_b32_e32 v1, 0
	s_and_b32 s7, s7, exec_lo
	s_cselect_b32 s21, 0, s3
	s_cselect_b32 s20, 1, s2
	s_xor_b32 s2, s12, s11
	s_delay_alu instid0(SALU_CYCLE_1)
	s_and_b32 s2, s2, exec_lo
	s_cselect_b32 s3, s5, 0
	s_cselect_b32 s2, s4, 1
	s_lshl_b64 s[4:5], s[20:21], 1
	s_lshl_b64 s[2:3], s[2:3], 1
	s_wait_kmcnt 0x0
	v_lshl_add_u64 v[4:5], v[8:9], 1, s[14:15]
	v_lshl_add_u64 v[6:7], v[6:7], 1, s[18:19]
.LBB67_29:                              ; =>This Inner Loop Header: Depth=1
	global_load_u16 v8, v[6:7], off
	global_load_u16 v9, v[4:5], off
	s_wait_xcnt 0x0
	v_add_nc_u64_e32 v[4:5], s[2:3], v[4:5]
	v_add_nc_u64_e32 v[6:7], s[4:5], v[6:7]
	s_add_nc_u64 s[8:9], s[8:9], -1
	s_delay_alu instid0(SALU_CYCLE_1) | instskip(SKIP_2) | instid1(VALU_DEP_1)
	s_cmp_eq_u64 s[8:9], 0
	s_wait_loadcnt 0x0
	v_mul_f16_e32 v8, v8, v9
	v_cvt_f32_f16_e32 v8, v8
	s_delay_alu instid0(VALU_DEP_1)
	v_add_f32_e32 v1, v1, v8
	s_cbranch_scc0 .LBB67_29
	s_branch .LBB67_31
.LBB67_30:
	v_mov_b32_e32 v1, 0
.LBB67_31:
	s_load_b64 s[0:1], s[0:1], 0x60
	v_dual_mov_b32 v5, s16 :: v_dual_lshlrev_b32 v4, 2, v0
	ds_store_b32 v4, v1
	s_wait_dscnt 0x0
	s_barrier_signal -1
	s_barrier_wait -1
	ds_load_b32 v1, v4
	v_mov_b32_e32 v4, s6
	s_wait_kmcnt 0x0
	v_lshl_add_u64 v[2:3], v[2:3], 2, s[0:1]
	global_load_b32 v0, v[2:3], off
	s_wait_loadcnt_dscnt 0x0
	v_pk_mul_f32 v[0:1], v[4:5], v[0:1]
	s_delay_alu instid0(VALU_DEP_1)
	v_add_f32_e32 v0, v0, v1
	global_store_b32 v[2:3], v0, off
.LBB67_32:
	s_endpgm
	.section	.rodata,"a",@progbits
	.p2align	6, 0x0
	.amdhsa_kernel _ZN9rocsparseL16sddmm_ell_kernelILi512ELi1EfllDF16_DF16_fEEv20rocsparse_operation_S1_16rocsparse_order_S2_T3_S3_S3_T2_NS_24const_host_device_scalarIT1_EEPKT4_lPKT5_lS7_PT6_PKS3_21rocsparse_index_base_b
		.amdhsa_group_segment_fixed_size 2048
		.amdhsa_private_segment_fixed_size 0
		.amdhsa_kernarg_size 120
		.amdhsa_user_sgpr_count 2
		.amdhsa_user_sgpr_dispatch_ptr 0
		.amdhsa_user_sgpr_queue_ptr 0
		.amdhsa_user_sgpr_kernarg_segment_ptr 1
		.amdhsa_user_sgpr_dispatch_id 0
		.amdhsa_user_sgpr_kernarg_preload_length 0
		.amdhsa_user_sgpr_kernarg_preload_offset 0
		.amdhsa_user_sgpr_private_segment_size 0
		.amdhsa_wavefront_size32 1
		.amdhsa_uses_dynamic_stack 0
		.amdhsa_enable_private_segment 0
		.amdhsa_system_sgpr_workgroup_id_x 1
		.amdhsa_system_sgpr_workgroup_id_y 0
		.amdhsa_system_sgpr_workgroup_id_z 0
		.amdhsa_system_sgpr_workgroup_info 0
		.amdhsa_system_vgpr_workitem_id 0
		.amdhsa_next_free_vgpr 14
		.amdhsa_next_free_sgpr 28
		.amdhsa_named_barrier_count 0
		.amdhsa_reserve_vcc 1
		.amdhsa_float_round_mode_32 0
		.amdhsa_float_round_mode_16_64 0
		.amdhsa_float_denorm_mode_32 3
		.amdhsa_float_denorm_mode_16_64 3
		.amdhsa_fp16_overflow 0
		.amdhsa_memory_ordered 1
		.amdhsa_forward_progress 1
		.amdhsa_inst_pref_size 12
		.amdhsa_round_robin_scheduling 0
		.amdhsa_exception_fp_ieee_invalid_op 0
		.amdhsa_exception_fp_denorm_src 0
		.amdhsa_exception_fp_ieee_div_zero 0
		.amdhsa_exception_fp_ieee_overflow 0
		.amdhsa_exception_fp_ieee_underflow 0
		.amdhsa_exception_fp_ieee_inexact 0
		.amdhsa_exception_int_div_zero 0
	.end_amdhsa_kernel
	.section	.text._ZN9rocsparseL16sddmm_ell_kernelILi512ELi1EfllDF16_DF16_fEEv20rocsparse_operation_S1_16rocsparse_order_S2_T3_S3_S3_T2_NS_24const_host_device_scalarIT1_EEPKT4_lPKT5_lS7_PT6_PKS3_21rocsparse_index_base_b,"axG",@progbits,_ZN9rocsparseL16sddmm_ell_kernelILi512ELi1EfllDF16_DF16_fEEv20rocsparse_operation_S1_16rocsparse_order_S2_T3_S3_S3_T2_NS_24const_host_device_scalarIT1_EEPKT4_lPKT5_lS7_PT6_PKS3_21rocsparse_index_base_b,comdat
.Lfunc_end67:
	.size	_ZN9rocsparseL16sddmm_ell_kernelILi512ELi1EfllDF16_DF16_fEEv20rocsparse_operation_S1_16rocsparse_order_S2_T3_S3_S3_T2_NS_24const_host_device_scalarIT1_EEPKT4_lPKT5_lS7_PT6_PKS3_21rocsparse_index_base_b, .Lfunc_end67-_ZN9rocsparseL16sddmm_ell_kernelILi512ELi1EfllDF16_DF16_fEEv20rocsparse_operation_S1_16rocsparse_order_S2_T3_S3_S3_T2_NS_24const_host_device_scalarIT1_EEPKT4_lPKT5_lS7_PT6_PKS3_21rocsparse_index_base_b
                                        ; -- End function
	.set _ZN9rocsparseL16sddmm_ell_kernelILi512ELi1EfllDF16_DF16_fEEv20rocsparse_operation_S1_16rocsparse_order_S2_T3_S3_S3_T2_NS_24const_host_device_scalarIT1_EEPKT4_lPKT5_lS7_PT6_PKS3_21rocsparse_index_base_b.num_vgpr, 14
	.set _ZN9rocsparseL16sddmm_ell_kernelILi512ELi1EfllDF16_DF16_fEEv20rocsparse_operation_S1_16rocsparse_order_S2_T3_S3_S3_T2_NS_24const_host_device_scalarIT1_EEPKT4_lPKT5_lS7_PT6_PKS3_21rocsparse_index_base_b.num_agpr, 0
	.set _ZN9rocsparseL16sddmm_ell_kernelILi512ELi1EfllDF16_DF16_fEEv20rocsparse_operation_S1_16rocsparse_order_S2_T3_S3_S3_T2_NS_24const_host_device_scalarIT1_EEPKT4_lPKT5_lS7_PT6_PKS3_21rocsparse_index_base_b.numbered_sgpr, 28
	.set _ZN9rocsparseL16sddmm_ell_kernelILi512ELi1EfllDF16_DF16_fEEv20rocsparse_operation_S1_16rocsparse_order_S2_T3_S3_S3_T2_NS_24const_host_device_scalarIT1_EEPKT4_lPKT5_lS7_PT6_PKS3_21rocsparse_index_base_b.num_named_barrier, 0
	.set _ZN9rocsparseL16sddmm_ell_kernelILi512ELi1EfllDF16_DF16_fEEv20rocsparse_operation_S1_16rocsparse_order_S2_T3_S3_S3_T2_NS_24const_host_device_scalarIT1_EEPKT4_lPKT5_lS7_PT6_PKS3_21rocsparse_index_base_b.private_seg_size, 0
	.set _ZN9rocsparseL16sddmm_ell_kernelILi512ELi1EfllDF16_DF16_fEEv20rocsparse_operation_S1_16rocsparse_order_S2_T3_S3_S3_T2_NS_24const_host_device_scalarIT1_EEPKT4_lPKT5_lS7_PT6_PKS3_21rocsparse_index_base_b.uses_vcc, 1
	.set _ZN9rocsparseL16sddmm_ell_kernelILi512ELi1EfllDF16_DF16_fEEv20rocsparse_operation_S1_16rocsparse_order_S2_T3_S3_S3_T2_NS_24const_host_device_scalarIT1_EEPKT4_lPKT5_lS7_PT6_PKS3_21rocsparse_index_base_b.uses_flat_scratch, 0
	.set _ZN9rocsparseL16sddmm_ell_kernelILi512ELi1EfllDF16_DF16_fEEv20rocsparse_operation_S1_16rocsparse_order_S2_T3_S3_S3_T2_NS_24const_host_device_scalarIT1_EEPKT4_lPKT5_lS7_PT6_PKS3_21rocsparse_index_base_b.has_dyn_sized_stack, 0
	.set _ZN9rocsparseL16sddmm_ell_kernelILi512ELi1EfllDF16_DF16_fEEv20rocsparse_operation_S1_16rocsparse_order_S2_T3_S3_S3_T2_NS_24const_host_device_scalarIT1_EEPKT4_lPKT5_lS7_PT6_PKS3_21rocsparse_index_base_b.has_recursion, 0
	.set _ZN9rocsparseL16sddmm_ell_kernelILi512ELi1EfllDF16_DF16_fEEv20rocsparse_operation_S1_16rocsparse_order_S2_T3_S3_S3_T2_NS_24const_host_device_scalarIT1_EEPKT4_lPKT5_lS7_PT6_PKS3_21rocsparse_index_base_b.has_indirect_call, 0
	.section	.AMDGPU.csdata,"",@progbits
; Kernel info:
; codeLenInByte = 1500
; TotalNumSgprs: 30
; NumVgprs: 14
; ScratchSize: 0
; MemoryBound: 0
; FloatMode: 240
; IeeeMode: 1
; LDSByteSize: 2048 bytes/workgroup (compile time only)
; SGPRBlocks: 0
; VGPRBlocks: 0
; NumSGPRsForWavesPerEU: 30
; NumVGPRsForWavesPerEU: 14
; NamedBarCnt: 0
; Occupancy: 16
; WaveLimiterHint : 0
; COMPUTE_PGM_RSRC2:SCRATCH_EN: 0
; COMPUTE_PGM_RSRC2:USER_SGPR: 2
; COMPUTE_PGM_RSRC2:TRAP_HANDLER: 0
; COMPUTE_PGM_RSRC2:TGID_X_EN: 1
; COMPUTE_PGM_RSRC2:TGID_Y_EN: 0
; COMPUTE_PGM_RSRC2:TGID_Z_EN: 0
; COMPUTE_PGM_RSRC2:TIDIG_COMP_CNT: 0
	.section	.AMDGPU.gpr_maximums,"",@progbits
	.set amdgpu.max_num_vgpr, 0
	.set amdgpu.max_num_agpr, 0
	.set amdgpu.max_num_sgpr, 0
	.section	.AMDGPU.csdata,"",@progbits
	.type	__hip_cuid_4e0ef03ae7b9de60,@object ; @__hip_cuid_4e0ef03ae7b9de60
	.section	.bss,"aw",@nobits
	.globl	__hip_cuid_4e0ef03ae7b9de60
__hip_cuid_4e0ef03ae7b9de60:
	.byte	0                               ; 0x0
	.size	__hip_cuid_4e0ef03ae7b9de60, 1

	.ident	"AMD clang version 22.0.0git (https://github.com/RadeonOpenCompute/llvm-project roc-7.2.4 26084 f58b06dce1f9c15707c5f808fd002e18c2accf7e)"
	.section	".note.GNU-stack","",@progbits
	.addrsig
	.addrsig_sym __hip_cuid_4e0ef03ae7b9de60
	.amdgpu_metadata
---
amdhsa.kernels:
  - .args:
      - .offset:         0
        .size:           4
        .value_kind:     by_value
      - .offset:         4
        .size:           4
        .value_kind:     by_value
      - .actual_access:  read_only
        .address_space:  global
        .offset:         8
        .size:           8
        .value_kind:     global_buffer
      - .offset:         16
        .size:           8
        .value_kind:     by_value
      - .offset:         24
        .size:           4
        .value_kind:     by_value
      - .actual_access:  write_only
        .address_space:  global
        .offset:         32
        .size:           8
        .value_kind:     global_buffer
      - .actual_access:  read_only
        .address_space:  global
        .offset:         40
        .size:           8
        .value_kind:     global_buffer
      - .offset:         48
        .size:           4
        .value_kind:     by_value
    .group_segment_fixed_size: 0
    .kernarg_segment_align: 8
    .kernarg_segment_size: 52
    .language:       OpenCL C
    .language_version:
      - 2
      - 0
    .max_flat_workgroup_size: 512
    .name:           _ZN9rocsparseL23sddmm_ell_sample_kernelILi16ELi32EDF16_iDF16_EEvT2_S1_PKT3_lS1_PS2_PKS1_21rocsparse_index_base_
    .private_segment_fixed_size: 0
    .sgpr_count:     18
    .sgpr_spill_count: 0
    .symbol:         _ZN9rocsparseL23sddmm_ell_sample_kernelILi16ELi32EDF16_iDF16_EEvT2_S1_PKT3_lS1_PS2_PKS1_21rocsparse_index_base_.kd
    .uniform_work_group_size: 1
    .uses_dynamic_stack: false
    .vgpr_count:     10
    .vgpr_spill_count: 0
    .wavefront_size: 32
  - .args:
      - .offset:         0
        .size:           4
        .value_kind:     by_value
      - .offset:         4
        .size:           4
        .value_kind:     by_value
      - .actual_access:  read_only
        .address_space:  global
        .offset:         8
        .size:           8
        .value_kind:     global_buffer
      - .offset:         16
        .size:           8
        .value_kind:     by_value
      - .offset:         24
        .size:           4
        .value_kind:     by_value
      - .actual_access:  write_only
        .address_space:  global
        .offset:         32
        .size:           8
        .value_kind:     global_buffer
      - .actual_access:  read_only
        .address_space:  global
        .offset:         40
        .size:           8
        .value_kind:     global_buffer
      - .offset:         48
        .size:           4
        .value_kind:     by_value
    .group_segment_fixed_size: 0
    .kernarg_segment_align: 8
    .kernarg_segment_size: 52
    .language:       OpenCL C
    .language_version:
      - 2
      - 0
    .max_flat_workgroup_size: 1024
    .name:           _ZN9rocsparseL23sddmm_ell_sample_kernelILi16ELi64EDF16_iDF16_EEvT2_S1_PKT3_lS1_PS2_PKS1_21rocsparse_index_base_
    .private_segment_fixed_size: 0
    .sgpr_count:     18
    .sgpr_spill_count: 0
    .symbol:         _ZN9rocsparseL23sddmm_ell_sample_kernelILi16ELi64EDF16_iDF16_EEvT2_S1_PKT3_lS1_PS2_PKS1_21rocsparse_index_base_.kd
    .uniform_work_group_size: 1
    .uses_dynamic_stack: false
    .vgpr_count:     10
    .vgpr_spill_count: 0
    .wavefront_size: 32
  - .args:
      - .offset:         0
        .size:           4
        .value_kind:     by_value
      - .offset:         4
        .size:           4
        .value_kind:     by_value
      - .offset:         8
        .size:           4
        .value_kind:     by_value
      - .offset:         12
        .size:           4
        .value_kind:     by_value
      - .offset:         16
        .size:           4
        .value_kind:     by_value
      - .offset:         20
        .size:           4
        .value_kind:     by_value
      - .offset:         24
        .size:           4
        .value_kind:     by_value
      - .offset:         28
        .size:           4
        .value_kind:     by_value
      - .offset:         32
        .size:           8
        .value_kind:     by_value
      - .actual_access:  read_only
        .address_space:  global
        .offset:         40
        .size:           8
        .value_kind:     global_buffer
      - .offset:         48
        .size:           8
        .value_kind:     by_value
      - .actual_access:  read_only
        .address_space:  global
        .offset:         56
        .size:           8
        .value_kind:     global_buffer
      - .offset:         64
        .size:           8
        .value_kind:     by_value
      - .offset:         72
        .size:           8
        .value_kind:     by_value
      - .address_space:  global
        .offset:         80
        .size:           8
        .value_kind:     global_buffer
      - .actual_access:  read_only
        .address_space:  global
        .offset:         88
        .size:           8
        .value_kind:     global_buffer
      - .offset:         96
        .size:           4
        .value_kind:     by_value
      - .offset:         100
        .size:           1
        .value_kind:     by_value
    .group_segment_fixed_size: 1024
    .kernarg_segment_align: 8
    .kernarg_segment_size: 104
    .language:       OpenCL C
    .language_version:
      - 2
      - 0
    .max_flat_workgroup_size: 512
    .name:           _ZN9rocsparseL16sddmm_ell_kernelILi512ELi8EDF16_iiDF16_DF16_DF16_EEv20rocsparse_operation_S1_16rocsparse_order_S2_T3_S3_S3_T2_NS_24const_host_device_scalarIT1_EEPKT4_lPKT5_lS7_PT6_PKS3_21rocsparse_index_base_b
    .private_segment_fixed_size: 0
    .sgpr_count:     17
    .sgpr_spill_count: 0
    .symbol:         _ZN9rocsparseL16sddmm_ell_kernelILi512ELi8EDF16_iiDF16_DF16_DF16_EEv20rocsparse_operation_S1_16rocsparse_order_S2_T3_S3_S3_T2_NS_24const_host_device_scalarIT1_EEPKT4_lPKT5_lS7_PT6_PKS3_21rocsparse_index_base_b.kd
    .uniform_work_group_size: 1
    .uses_dynamic_stack: false
    .vgpr_count:     16
    .vgpr_spill_count: 0
    .wavefront_size: 32
  - .args:
      - .offset:         0
        .size:           4
        .value_kind:     by_value
      - .offset:         4
        .size:           4
        .value_kind:     by_value
      - .offset:         8
        .size:           4
        .value_kind:     by_value
      - .offset:         12
        .size:           4
        .value_kind:     by_value
      - .offset:         16
        .size:           4
        .value_kind:     by_value
      - .offset:         20
        .size:           4
        .value_kind:     by_value
      - .offset:         24
        .size:           4
        .value_kind:     by_value
      - .offset:         28
        .size:           4
        .value_kind:     by_value
      - .offset:         32
        .size:           8
        .value_kind:     by_value
      - .actual_access:  read_only
        .address_space:  global
        .offset:         40
        .size:           8
        .value_kind:     global_buffer
      - .offset:         48
        .size:           8
        .value_kind:     by_value
      - .actual_access:  read_only
        .address_space:  global
        .offset:         56
        .size:           8
        .value_kind:     global_buffer
      - .offset:         64
        .size:           8
        .value_kind:     by_value
      - .offset:         72
        .size:           8
        .value_kind:     by_value
      - .address_space:  global
        .offset:         80
        .size:           8
        .value_kind:     global_buffer
      - .actual_access:  read_only
        .address_space:  global
        .offset:         88
        .size:           8
        .value_kind:     global_buffer
      - .offset:         96
        .size:           4
        .value_kind:     by_value
      - .offset:         100
        .size:           1
        .value_kind:     by_value
    .group_segment_fixed_size: 1024
    .kernarg_segment_align: 8
    .kernarg_segment_size: 104
    .language:       OpenCL C
    .language_version:
      - 2
      - 0
    .max_flat_workgroup_size: 512
    .name:           _ZN9rocsparseL16sddmm_ell_kernelILi512ELi4EDF16_iiDF16_DF16_DF16_EEv20rocsparse_operation_S1_16rocsparse_order_S2_T3_S3_S3_T2_NS_24const_host_device_scalarIT1_EEPKT4_lPKT5_lS7_PT6_PKS3_21rocsparse_index_base_b
    .private_segment_fixed_size: 0
    .sgpr_count:     17
    .sgpr_spill_count: 0
    .symbol:         _ZN9rocsparseL16sddmm_ell_kernelILi512ELi4EDF16_iiDF16_DF16_DF16_EEv20rocsparse_operation_S1_16rocsparse_order_S2_T3_S3_S3_T2_NS_24const_host_device_scalarIT1_EEPKT4_lPKT5_lS7_PT6_PKS3_21rocsparse_index_base_b.kd
    .uniform_work_group_size: 1
    .uses_dynamic_stack: false
    .vgpr_count:     16
    .vgpr_spill_count: 0
    .wavefront_size: 32
  - .args:
      - .offset:         0
        .size:           4
        .value_kind:     by_value
      - .offset:         4
        .size:           4
        .value_kind:     by_value
      - .offset:         8
        .size:           4
        .value_kind:     by_value
      - .offset:         12
        .size:           4
        .value_kind:     by_value
      - .offset:         16
        .size:           4
        .value_kind:     by_value
      - .offset:         20
        .size:           4
        .value_kind:     by_value
      - .offset:         24
        .size:           4
        .value_kind:     by_value
      - .offset:         28
        .size:           4
        .value_kind:     by_value
      - .offset:         32
        .size:           8
        .value_kind:     by_value
      - .actual_access:  read_only
        .address_space:  global
        .offset:         40
        .size:           8
        .value_kind:     global_buffer
      - .offset:         48
        .size:           8
        .value_kind:     by_value
      - .actual_access:  read_only
        .address_space:  global
        .offset:         56
        .size:           8
        .value_kind:     global_buffer
      - .offset:         64
        .size:           8
        .value_kind:     by_value
      - .offset:         72
        .size:           8
        .value_kind:     by_value
      - .address_space:  global
        .offset:         80
        .size:           8
        .value_kind:     global_buffer
      - .actual_access:  read_only
        .address_space:  global
        .offset:         88
        .size:           8
        .value_kind:     global_buffer
      - .offset:         96
        .size:           4
        .value_kind:     by_value
      - .offset:         100
        .size:           1
        .value_kind:     by_value
    .group_segment_fixed_size: 1024
    .kernarg_segment_align: 8
    .kernarg_segment_size: 104
    .language:       OpenCL C
    .language_version:
      - 2
      - 0
    .max_flat_workgroup_size: 512
    .name:           _ZN9rocsparseL16sddmm_ell_kernelILi512ELi2EDF16_iiDF16_DF16_DF16_EEv20rocsparse_operation_S1_16rocsparse_order_S2_T3_S3_S3_T2_NS_24const_host_device_scalarIT1_EEPKT4_lPKT5_lS7_PT6_PKS3_21rocsparse_index_base_b
    .private_segment_fixed_size: 0
    .sgpr_count:     17
    .sgpr_spill_count: 0
    .symbol:         _ZN9rocsparseL16sddmm_ell_kernelILi512ELi2EDF16_iiDF16_DF16_DF16_EEv20rocsparse_operation_S1_16rocsparse_order_S2_T3_S3_S3_T2_NS_24const_host_device_scalarIT1_EEPKT4_lPKT5_lS7_PT6_PKS3_21rocsparse_index_base_b.kd
    .uniform_work_group_size: 1
    .uses_dynamic_stack: false
    .vgpr_count:     16
    .vgpr_spill_count: 0
    .wavefront_size: 32
  - .args:
      - .offset:         0
        .size:           4
        .value_kind:     by_value
      - .offset:         4
        .size:           4
        .value_kind:     by_value
      - .offset:         8
        .size:           4
        .value_kind:     by_value
      - .offset:         12
        .size:           4
        .value_kind:     by_value
      - .offset:         16
        .size:           4
        .value_kind:     by_value
      - .offset:         20
        .size:           4
        .value_kind:     by_value
      - .offset:         24
        .size:           4
        .value_kind:     by_value
      - .offset:         28
        .size:           4
        .value_kind:     by_value
      - .offset:         32
        .size:           8
        .value_kind:     by_value
      - .actual_access:  read_only
        .address_space:  global
        .offset:         40
        .size:           8
        .value_kind:     global_buffer
      - .offset:         48
        .size:           8
        .value_kind:     by_value
      - .actual_access:  read_only
        .address_space:  global
        .offset:         56
        .size:           8
        .value_kind:     global_buffer
      - .offset:         64
        .size:           8
        .value_kind:     by_value
      - .offset:         72
        .size:           8
        .value_kind:     by_value
      - .address_space:  global
        .offset:         80
        .size:           8
        .value_kind:     global_buffer
      - .actual_access:  read_only
        .address_space:  global
        .offset:         88
        .size:           8
        .value_kind:     global_buffer
      - .offset:         96
        .size:           4
        .value_kind:     by_value
      - .offset:         100
        .size:           1
        .value_kind:     by_value
    .group_segment_fixed_size: 1024
    .kernarg_segment_align: 8
    .kernarg_segment_size: 104
    .language:       OpenCL C
    .language_version:
      - 2
      - 0
    .max_flat_workgroup_size: 512
    .name:           _ZN9rocsparseL16sddmm_ell_kernelILi512ELi1EDF16_iiDF16_DF16_DF16_EEv20rocsparse_operation_S1_16rocsparse_order_S2_T3_S3_S3_T2_NS_24const_host_device_scalarIT1_EEPKT4_lPKT5_lS7_PT6_PKS3_21rocsparse_index_base_b
    .private_segment_fixed_size: 0
    .sgpr_count:     20
    .sgpr_spill_count: 0
    .symbol:         _ZN9rocsparseL16sddmm_ell_kernelILi512ELi1EDF16_iiDF16_DF16_DF16_EEv20rocsparse_operation_S1_16rocsparse_order_S2_T3_S3_S3_T2_NS_24const_host_device_scalarIT1_EEPKT4_lPKT5_lS7_PT6_PKS3_21rocsparse_index_base_b.kd
    .uniform_work_group_size: 1
    .uses_dynamic_stack: false
    .vgpr_count:     12
    .vgpr_spill_count: 0
    .wavefront_size: 32
  - .args:
      - .offset:         0
        .size:           4
        .value_kind:     by_value
      - .offset:         4
        .size:           4
        .value_kind:     by_value
      - .actual_access:  read_only
        .address_space:  global
        .offset:         8
        .size:           8
        .value_kind:     global_buffer
      - .offset:         16
        .size:           8
        .value_kind:     by_value
      - .offset:         24
        .size:           4
        .value_kind:     by_value
      - .actual_access:  write_only
        .address_space:  global
        .offset:         32
        .size:           8
        .value_kind:     global_buffer
      - .actual_access:  read_only
        .address_space:  global
        .offset:         40
        .size:           8
        .value_kind:     global_buffer
      - .offset:         48
        .size:           4
        .value_kind:     by_value
    .group_segment_fixed_size: 0
    .kernarg_segment_align: 8
    .kernarg_segment_size: 52
    .language:       OpenCL C
    .language_version:
      - 2
      - 0
    .max_flat_workgroup_size: 512
    .name:           _ZN9rocsparseL23sddmm_ell_sample_kernelILi16ELi32EfifEEvT2_S1_PKT3_lS1_PS2_PKS1_21rocsparse_index_base_
    .private_segment_fixed_size: 0
    .sgpr_count:     18
    .sgpr_spill_count: 0
    .symbol:         _ZN9rocsparseL23sddmm_ell_sample_kernelILi16ELi32EfifEEvT2_S1_PKT3_lS1_PS2_PKS1_21rocsparse_index_base_.kd
    .uniform_work_group_size: 1
    .uses_dynamic_stack: false
    .vgpr_count:     10
    .vgpr_spill_count: 0
    .wavefront_size: 32
  - .args:
      - .offset:         0
        .size:           4
        .value_kind:     by_value
      - .offset:         4
        .size:           4
        .value_kind:     by_value
      - .actual_access:  read_only
        .address_space:  global
        .offset:         8
        .size:           8
        .value_kind:     global_buffer
      - .offset:         16
        .size:           8
        .value_kind:     by_value
      - .offset:         24
        .size:           4
        .value_kind:     by_value
      - .actual_access:  write_only
        .address_space:  global
        .offset:         32
        .size:           8
        .value_kind:     global_buffer
      - .actual_access:  read_only
        .address_space:  global
        .offset:         40
        .size:           8
        .value_kind:     global_buffer
      - .offset:         48
        .size:           4
        .value_kind:     by_value
    .group_segment_fixed_size: 0
    .kernarg_segment_align: 8
    .kernarg_segment_size: 52
    .language:       OpenCL C
    .language_version:
      - 2
      - 0
    .max_flat_workgroup_size: 1024
    .name:           _ZN9rocsparseL23sddmm_ell_sample_kernelILi16ELi64EfifEEvT2_S1_PKT3_lS1_PS2_PKS1_21rocsparse_index_base_
    .private_segment_fixed_size: 0
    .sgpr_count:     18
    .sgpr_spill_count: 0
    .symbol:         _ZN9rocsparseL23sddmm_ell_sample_kernelILi16ELi64EfifEEvT2_S1_PKT3_lS1_PS2_PKS1_21rocsparse_index_base_.kd
    .uniform_work_group_size: 1
    .uses_dynamic_stack: false
    .vgpr_count:     10
    .vgpr_spill_count: 0
    .wavefront_size: 32
  - .args:
      - .offset:         0
        .size:           4
        .value_kind:     by_value
      - .offset:         4
        .size:           4
        .value_kind:     by_value
      - .offset:         8
        .size:           4
        .value_kind:     by_value
      - .offset:         12
        .size:           4
        .value_kind:     by_value
      - .offset:         16
        .size:           4
        .value_kind:     by_value
      - .offset:         20
        .size:           4
        .value_kind:     by_value
      - .offset:         24
        .size:           4
        .value_kind:     by_value
      - .offset:         28
        .size:           4
        .value_kind:     by_value
      - .offset:         32
        .size:           8
        .value_kind:     by_value
      - .actual_access:  read_only
        .address_space:  global
        .offset:         40
        .size:           8
        .value_kind:     global_buffer
      - .offset:         48
        .size:           8
        .value_kind:     by_value
      - .actual_access:  read_only
        .address_space:  global
        .offset:         56
        .size:           8
        .value_kind:     global_buffer
      - .offset:         64
        .size:           8
        .value_kind:     by_value
      - .offset:         72
        .size:           8
        .value_kind:     by_value
      - .address_space:  global
        .offset:         80
        .size:           8
        .value_kind:     global_buffer
      - .actual_access:  read_only
        .address_space:  global
        .offset:         88
        .size:           8
        .value_kind:     global_buffer
      - .offset:         96
        .size:           4
        .value_kind:     by_value
      - .offset:         100
        .size:           1
        .value_kind:     by_value
    .group_segment_fixed_size: 2048
    .kernarg_segment_align: 8
    .kernarg_segment_size: 104
    .language:       OpenCL C
    .language_version:
      - 2
      - 0
    .max_flat_workgroup_size: 512
    .name:           _ZN9rocsparseL16sddmm_ell_kernelILi512ELi8EfiifffEEv20rocsparse_operation_S1_16rocsparse_order_S2_T3_S3_S3_T2_NS_24const_host_device_scalarIT1_EEPKT4_lPKT5_lS7_PT6_PKS3_21rocsparse_index_base_b
    .private_segment_fixed_size: 0
    .sgpr_count:     20
    .sgpr_spill_count: 0
    .symbol:         _ZN9rocsparseL16sddmm_ell_kernelILi512ELi8EfiifffEEv20rocsparse_operation_S1_16rocsparse_order_S2_T3_S3_S3_T2_NS_24const_host_device_scalarIT1_EEPKT4_lPKT5_lS7_PT6_PKS3_21rocsparse_index_base_b.kd
    .uniform_work_group_size: 1
    .uses_dynamic_stack: false
    .vgpr_count:     14
    .vgpr_spill_count: 0
    .wavefront_size: 32
  - .args:
      - .offset:         0
        .size:           4
        .value_kind:     by_value
      - .offset:         4
        .size:           4
        .value_kind:     by_value
      - .offset:         8
        .size:           4
        .value_kind:     by_value
      - .offset:         12
        .size:           4
        .value_kind:     by_value
      - .offset:         16
        .size:           4
        .value_kind:     by_value
      - .offset:         20
        .size:           4
        .value_kind:     by_value
      - .offset:         24
        .size:           4
        .value_kind:     by_value
      - .offset:         28
        .size:           4
        .value_kind:     by_value
      - .offset:         32
        .size:           8
        .value_kind:     by_value
      - .actual_access:  read_only
        .address_space:  global
        .offset:         40
        .size:           8
        .value_kind:     global_buffer
      - .offset:         48
        .size:           8
        .value_kind:     by_value
      - .actual_access:  read_only
        .address_space:  global
        .offset:         56
        .size:           8
        .value_kind:     global_buffer
      - .offset:         64
        .size:           8
        .value_kind:     by_value
      - .offset:         72
        .size:           8
        .value_kind:     by_value
      - .address_space:  global
        .offset:         80
        .size:           8
        .value_kind:     global_buffer
      - .actual_access:  read_only
        .address_space:  global
        .offset:         88
        .size:           8
        .value_kind:     global_buffer
      - .offset:         96
        .size:           4
        .value_kind:     by_value
      - .offset:         100
        .size:           1
        .value_kind:     by_value
    .group_segment_fixed_size: 2048
    .kernarg_segment_align: 8
    .kernarg_segment_size: 104
    .language:       OpenCL C
    .language_version:
      - 2
      - 0
    .max_flat_workgroup_size: 512
    .name:           _ZN9rocsparseL16sddmm_ell_kernelILi512ELi4EfiifffEEv20rocsparse_operation_S1_16rocsparse_order_S2_T3_S3_S3_T2_NS_24const_host_device_scalarIT1_EEPKT4_lPKT5_lS7_PT6_PKS3_21rocsparse_index_base_b
    .private_segment_fixed_size: 0
    .sgpr_count:     20
    .sgpr_spill_count: 0
    .symbol:         _ZN9rocsparseL16sddmm_ell_kernelILi512ELi4EfiifffEEv20rocsparse_operation_S1_16rocsparse_order_S2_T3_S3_S3_T2_NS_24const_host_device_scalarIT1_EEPKT4_lPKT5_lS7_PT6_PKS3_21rocsparse_index_base_b.kd
    .uniform_work_group_size: 1
    .uses_dynamic_stack: false
    .vgpr_count:     14
    .vgpr_spill_count: 0
    .wavefront_size: 32
  - .args:
      - .offset:         0
        .size:           4
        .value_kind:     by_value
      - .offset:         4
        .size:           4
        .value_kind:     by_value
      - .offset:         8
        .size:           4
        .value_kind:     by_value
      - .offset:         12
        .size:           4
        .value_kind:     by_value
      - .offset:         16
        .size:           4
        .value_kind:     by_value
      - .offset:         20
        .size:           4
        .value_kind:     by_value
      - .offset:         24
        .size:           4
        .value_kind:     by_value
      - .offset:         28
        .size:           4
        .value_kind:     by_value
      - .offset:         32
        .size:           8
        .value_kind:     by_value
      - .actual_access:  read_only
        .address_space:  global
        .offset:         40
        .size:           8
        .value_kind:     global_buffer
      - .offset:         48
        .size:           8
        .value_kind:     by_value
      - .actual_access:  read_only
        .address_space:  global
        .offset:         56
        .size:           8
        .value_kind:     global_buffer
      - .offset:         64
        .size:           8
        .value_kind:     by_value
      - .offset:         72
        .size:           8
        .value_kind:     by_value
      - .address_space:  global
        .offset:         80
        .size:           8
        .value_kind:     global_buffer
      - .actual_access:  read_only
        .address_space:  global
        .offset:         88
        .size:           8
        .value_kind:     global_buffer
      - .offset:         96
        .size:           4
        .value_kind:     by_value
      - .offset:         100
        .size:           1
        .value_kind:     by_value
    .group_segment_fixed_size: 2048
    .kernarg_segment_align: 8
    .kernarg_segment_size: 104
    .language:       OpenCL C
    .language_version:
      - 2
      - 0
    .max_flat_workgroup_size: 512
    .name:           _ZN9rocsparseL16sddmm_ell_kernelILi512ELi2EfiifffEEv20rocsparse_operation_S1_16rocsparse_order_S2_T3_S3_S3_T2_NS_24const_host_device_scalarIT1_EEPKT4_lPKT5_lS7_PT6_PKS3_21rocsparse_index_base_b
    .private_segment_fixed_size: 0
    .sgpr_count:     20
    .sgpr_spill_count: 0
    .symbol:         _ZN9rocsparseL16sddmm_ell_kernelILi512ELi2EfiifffEEv20rocsparse_operation_S1_16rocsparse_order_S2_T3_S3_S3_T2_NS_24const_host_device_scalarIT1_EEPKT4_lPKT5_lS7_PT6_PKS3_21rocsparse_index_base_b.kd
    .uniform_work_group_size: 1
    .uses_dynamic_stack: false
    .vgpr_count:     14
    .vgpr_spill_count: 0
    .wavefront_size: 32
  - .args:
      - .offset:         0
        .size:           4
        .value_kind:     by_value
      - .offset:         4
        .size:           4
        .value_kind:     by_value
      - .offset:         8
        .size:           4
        .value_kind:     by_value
      - .offset:         12
        .size:           4
        .value_kind:     by_value
      - .offset:         16
        .size:           4
        .value_kind:     by_value
      - .offset:         20
        .size:           4
        .value_kind:     by_value
      - .offset:         24
        .size:           4
        .value_kind:     by_value
      - .offset:         28
        .size:           4
        .value_kind:     by_value
      - .offset:         32
        .size:           8
        .value_kind:     by_value
      - .actual_access:  read_only
        .address_space:  global
        .offset:         40
        .size:           8
        .value_kind:     global_buffer
      - .offset:         48
        .size:           8
        .value_kind:     by_value
      - .actual_access:  read_only
        .address_space:  global
        .offset:         56
        .size:           8
        .value_kind:     global_buffer
      - .offset:         64
        .size:           8
        .value_kind:     by_value
      - .offset:         72
        .size:           8
        .value_kind:     by_value
      - .address_space:  global
        .offset:         80
        .size:           8
        .value_kind:     global_buffer
      - .actual_access:  read_only
        .address_space:  global
        .offset:         88
        .size:           8
        .value_kind:     global_buffer
      - .offset:         96
        .size:           4
        .value_kind:     by_value
      - .offset:         100
        .size:           1
        .value_kind:     by_value
    .group_segment_fixed_size: 2048
    .kernarg_segment_align: 8
    .kernarg_segment_size: 104
    .language:       OpenCL C
    .language_version:
      - 2
      - 0
    .max_flat_workgroup_size: 512
    .name:           _ZN9rocsparseL16sddmm_ell_kernelILi512ELi1EfiifffEEv20rocsparse_operation_S1_16rocsparse_order_S2_T3_S3_S3_T2_NS_24const_host_device_scalarIT1_EEPKT4_lPKT5_lS7_PT6_PKS3_21rocsparse_index_base_b
    .private_segment_fixed_size: 0
    .sgpr_count:     22
    .sgpr_spill_count: 0
    .symbol:         _ZN9rocsparseL16sddmm_ell_kernelILi512ELi1EfiifffEEv20rocsparse_operation_S1_16rocsparse_order_S2_T3_S3_S3_T2_NS_24const_host_device_scalarIT1_EEPKT4_lPKT5_lS7_PT6_PKS3_21rocsparse_index_base_b.kd
    .uniform_work_group_size: 1
    .uses_dynamic_stack: false
    .vgpr_count:     10
    .vgpr_spill_count: 0
    .wavefront_size: 32
  - .args:
      - .offset:         0
        .size:           4
        .value_kind:     by_value
      - .offset:         4
        .size:           4
        .value_kind:     by_value
      - .actual_access:  read_only
        .address_space:  global
        .offset:         8
        .size:           8
        .value_kind:     global_buffer
      - .offset:         16
        .size:           8
        .value_kind:     by_value
      - .offset:         24
        .size:           4
        .value_kind:     by_value
      - .actual_access:  write_only
        .address_space:  global
        .offset:         32
        .size:           8
        .value_kind:     global_buffer
      - .actual_access:  read_only
        .address_space:  global
        .offset:         40
        .size:           8
        .value_kind:     global_buffer
      - .offset:         48
        .size:           4
        .value_kind:     by_value
    .group_segment_fixed_size: 0
    .kernarg_segment_align: 8
    .kernarg_segment_size: 52
    .language:       OpenCL C
    .language_version:
      - 2
      - 0
    .max_flat_workgroup_size: 512
    .name:           _ZN9rocsparseL23sddmm_ell_sample_kernelILi16ELi32EdidEEvT2_S1_PKT3_lS1_PS2_PKS1_21rocsparse_index_base_
    .private_segment_fixed_size: 0
    .sgpr_count:     18
    .sgpr_spill_count: 0
    .symbol:         _ZN9rocsparseL23sddmm_ell_sample_kernelILi16ELi32EdidEEvT2_S1_PKT3_lS1_PS2_PKS1_21rocsparse_index_base_.kd
    .uniform_work_group_size: 1
    .uses_dynamic_stack: false
    .vgpr_count:     10
    .vgpr_spill_count: 0
    .wavefront_size: 32
  - .args:
      - .offset:         0
        .size:           4
        .value_kind:     by_value
      - .offset:         4
        .size:           4
        .value_kind:     by_value
      - .actual_access:  read_only
        .address_space:  global
        .offset:         8
        .size:           8
        .value_kind:     global_buffer
      - .offset:         16
        .size:           8
        .value_kind:     by_value
      - .offset:         24
        .size:           4
        .value_kind:     by_value
      - .actual_access:  write_only
        .address_space:  global
        .offset:         32
        .size:           8
        .value_kind:     global_buffer
      - .actual_access:  read_only
        .address_space:  global
        .offset:         40
        .size:           8
        .value_kind:     global_buffer
      - .offset:         48
        .size:           4
        .value_kind:     by_value
    .group_segment_fixed_size: 0
    .kernarg_segment_align: 8
    .kernarg_segment_size: 52
    .language:       OpenCL C
    .language_version:
      - 2
      - 0
    .max_flat_workgroup_size: 1024
    .name:           _ZN9rocsparseL23sddmm_ell_sample_kernelILi16ELi64EdidEEvT2_S1_PKT3_lS1_PS2_PKS1_21rocsparse_index_base_
    .private_segment_fixed_size: 0
    .sgpr_count:     18
    .sgpr_spill_count: 0
    .symbol:         _ZN9rocsparseL23sddmm_ell_sample_kernelILi16ELi64EdidEEvT2_S1_PKT3_lS1_PS2_PKS1_21rocsparse_index_base_.kd
    .uniform_work_group_size: 1
    .uses_dynamic_stack: false
    .vgpr_count:     10
    .vgpr_spill_count: 0
    .wavefront_size: 32
  - .args:
      - .offset:         0
        .size:           4
        .value_kind:     by_value
      - .offset:         4
        .size:           4
        .value_kind:     by_value
      - .offset:         8
        .size:           4
        .value_kind:     by_value
      - .offset:         12
        .size:           4
        .value_kind:     by_value
      - .offset:         16
        .size:           4
        .value_kind:     by_value
      - .offset:         20
        .size:           4
        .value_kind:     by_value
      - .offset:         24
        .size:           4
        .value_kind:     by_value
      - .offset:         28
        .size:           4
        .value_kind:     by_value
      - .offset:         32
        .size:           8
        .value_kind:     by_value
      - .actual_access:  read_only
        .address_space:  global
        .offset:         40
        .size:           8
        .value_kind:     global_buffer
      - .offset:         48
        .size:           8
        .value_kind:     by_value
      - .actual_access:  read_only
        .address_space:  global
        .offset:         56
        .size:           8
        .value_kind:     global_buffer
      - .offset:         64
        .size:           8
        .value_kind:     by_value
      - .offset:         72
        .size:           8
        .value_kind:     by_value
      - .address_space:  global
        .offset:         80
        .size:           8
        .value_kind:     global_buffer
      - .actual_access:  read_only
        .address_space:  global
        .offset:         88
        .size:           8
        .value_kind:     global_buffer
      - .offset:         96
        .size:           4
        .value_kind:     by_value
      - .offset:         100
        .size:           1
        .value_kind:     by_value
    .group_segment_fixed_size: 4096
    .kernarg_segment_align: 8
    .kernarg_segment_size: 104
    .language:       OpenCL C
    .language_version:
      - 2
      - 0
    .max_flat_workgroup_size: 512
    .name:           _ZN9rocsparseL16sddmm_ell_kernelILi512ELi8EdiidddEEv20rocsparse_operation_S1_16rocsparse_order_S2_T3_S3_S3_T2_NS_24const_host_device_scalarIT1_EEPKT4_lPKT5_lS7_PT6_PKS3_21rocsparse_index_base_b
    .private_segment_fixed_size: 0
    .sgpr_count:     17
    .sgpr_spill_count: 0
    .symbol:         _ZN9rocsparseL16sddmm_ell_kernelILi512ELi8EdiidddEEv20rocsparse_operation_S1_16rocsparse_order_S2_T3_S3_S3_T2_NS_24const_host_device_scalarIT1_EEPKT4_lPKT5_lS7_PT6_PKS3_21rocsparse_index_base_b.kd
    .uniform_work_group_size: 1
    .uses_dynamic_stack: false
    .vgpr_count:     20
    .vgpr_spill_count: 0
    .wavefront_size: 32
  - .args:
      - .offset:         0
        .size:           4
        .value_kind:     by_value
      - .offset:         4
        .size:           4
        .value_kind:     by_value
      - .offset:         8
        .size:           4
        .value_kind:     by_value
      - .offset:         12
        .size:           4
        .value_kind:     by_value
      - .offset:         16
        .size:           4
        .value_kind:     by_value
      - .offset:         20
        .size:           4
        .value_kind:     by_value
      - .offset:         24
        .size:           4
        .value_kind:     by_value
      - .offset:         28
        .size:           4
        .value_kind:     by_value
      - .offset:         32
        .size:           8
        .value_kind:     by_value
      - .actual_access:  read_only
        .address_space:  global
        .offset:         40
        .size:           8
        .value_kind:     global_buffer
      - .offset:         48
        .size:           8
        .value_kind:     by_value
      - .actual_access:  read_only
        .address_space:  global
        .offset:         56
        .size:           8
        .value_kind:     global_buffer
      - .offset:         64
        .size:           8
        .value_kind:     by_value
      - .offset:         72
        .size:           8
        .value_kind:     by_value
      - .address_space:  global
        .offset:         80
        .size:           8
        .value_kind:     global_buffer
      - .actual_access:  read_only
        .address_space:  global
        .offset:         88
        .size:           8
        .value_kind:     global_buffer
      - .offset:         96
        .size:           4
        .value_kind:     by_value
      - .offset:         100
        .size:           1
        .value_kind:     by_value
    .group_segment_fixed_size: 4096
    .kernarg_segment_align: 8
    .kernarg_segment_size: 104
    .language:       OpenCL C
    .language_version:
      - 2
      - 0
    .max_flat_workgroup_size: 512
    .name:           _ZN9rocsparseL16sddmm_ell_kernelILi512ELi4EdiidddEEv20rocsparse_operation_S1_16rocsparse_order_S2_T3_S3_S3_T2_NS_24const_host_device_scalarIT1_EEPKT4_lPKT5_lS7_PT6_PKS3_21rocsparse_index_base_b
    .private_segment_fixed_size: 0
    .sgpr_count:     17
    .sgpr_spill_count: 0
    .symbol:         _ZN9rocsparseL16sddmm_ell_kernelILi512ELi4EdiidddEEv20rocsparse_operation_S1_16rocsparse_order_S2_T3_S3_S3_T2_NS_24const_host_device_scalarIT1_EEPKT4_lPKT5_lS7_PT6_PKS3_21rocsparse_index_base_b.kd
    .uniform_work_group_size: 1
    .uses_dynamic_stack: false
    .vgpr_count:     20
    .vgpr_spill_count: 0
    .wavefront_size: 32
  - .args:
      - .offset:         0
        .size:           4
        .value_kind:     by_value
      - .offset:         4
        .size:           4
        .value_kind:     by_value
      - .offset:         8
        .size:           4
        .value_kind:     by_value
      - .offset:         12
        .size:           4
        .value_kind:     by_value
      - .offset:         16
        .size:           4
        .value_kind:     by_value
      - .offset:         20
        .size:           4
        .value_kind:     by_value
      - .offset:         24
        .size:           4
        .value_kind:     by_value
      - .offset:         28
        .size:           4
        .value_kind:     by_value
      - .offset:         32
        .size:           8
        .value_kind:     by_value
      - .actual_access:  read_only
        .address_space:  global
        .offset:         40
        .size:           8
        .value_kind:     global_buffer
      - .offset:         48
        .size:           8
        .value_kind:     by_value
      - .actual_access:  read_only
        .address_space:  global
        .offset:         56
        .size:           8
        .value_kind:     global_buffer
      - .offset:         64
        .size:           8
        .value_kind:     by_value
      - .offset:         72
        .size:           8
        .value_kind:     by_value
      - .address_space:  global
        .offset:         80
        .size:           8
        .value_kind:     global_buffer
      - .actual_access:  read_only
        .address_space:  global
        .offset:         88
        .size:           8
        .value_kind:     global_buffer
      - .offset:         96
        .size:           4
        .value_kind:     by_value
      - .offset:         100
        .size:           1
        .value_kind:     by_value
    .group_segment_fixed_size: 4096
    .kernarg_segment_align: 8
    .kernarg_segment_size: 104
    .language:       OpenCL C
    .language_version:
      - 2
      - 0
    .max_flat_workgroup_size: 512
    .name:           _ZN9rocsparseL16sddmm_ell_kernelILi512ELi2EdiidddEEv20rocsparse_operation_S1_16rocsparse_order_S2_T3_S3_S3_T2_NS_24const_host_device_scalarIT1_EEPKT4_lPKT5_lS7_PT6_PKS3_21rocsparse_index_base_b
    .private_segment_fixed_size: 0
    .sgpr_count:     17
    .sgpr_spill_count: 0
    .symbol:         _ZN9rocsparseL16sddmm_ell_kernelILi512ELi2EdiidddEEv20rocsparse_operation_S1_16rocsparse_order_S2_T3_S3_S3_T2_NS_24const_host_device_scalarIT1_EEPKT4_lPKT5_lS7_PT6_PKS3_21rocsparse_index_base_b.kd
    .uniform_work_group_size: 1
    .uses_dynamic_stack: false
    .vgpr_count:     20
    .vgpr_spill_count: 0
    .wavefront_size: 32
  - .args:
      - .offset:         0
        .size:           4
        .value_kind:     by_value
      - .offset:         4
        .size:           4
        .value_kind:     by_value
      - .offset:         8
        .size:           4
        .value_kind:     by_value
      - .offset:         12
        .size:           4
        .value_kind:     by_value
      - .offset:         16
        .size:           4
        .value_kind:     by_value
      - .offset:         20
        .size:           4
        .value_kind:     by_value
      - .offset:         24
        .size:           4
        .value_kind:     by_value
      - .offset:         28
        .size:           4
        .value_kind:     by_value
      - .offset:         32
        .size:           8
        .value_kind:     by_value
      - .actual_access:  read_only
        .address_space:  global
        .offset:         40
        .size:           8
        .value_kind:     global_buffer
      - .offset:         48
        .size:           8
        .value_kind:     by_value
      - .actual_access:  read_only
        .address_space:  global
        .offset:         56
        .size:           8
        .value_kind:     global_buffer
      - .offset:         64
        .size:           8
        .value_kind:     by_value
      - .offset:         72
        .size:           8
        .value_kind:     by_value
      - .address_space:  global
        .offset:         80
        .size:           8
        .value_kind:     global_buffer
      - .actual_access:  read_only
        .address_space:  global
        .offset:         88
        .size:           8
        .value_kind:     global_buffer
      - .offset:         96
        .size:           4
        .value_kind:     by_value
      - .offset:         100
        .size:           1
        .value_kind:     by_value
    .group_segment_fixed_size: 4096
    .kernarg_segment_align: 8
    .kernarg_segment_size: 104
    .language:       OpenCL C
    .language_version:
      - 2
      - 0
    .max_flat_workgroup_size: 512
    .name:           _ZN9rocsparseL16sddmm_ell_kernelILi512ELi1EdiidddEEv20rocsparse_operation_S1_16rocsparse_order_S2_T3_S3_S3_T2_NS_24const_host_device_scalarIT1_EEPKT4_lPKT5_lS7_PT6_PKS3_21rocsparse_index_base_b
    .private_segment_fixed_size: 0
    .sgpr_count:     20
    .sgpr_spill_count: 0
    .symbol:         _ZN9rocsparseL16sddmm_ell_kernelILi512ELi1EdiidddEEv20rocsparse_operation_S1_16rocsparse_order_S2_T3_S3_S3_T2_NS_24const_host_device_scalarIT1_EEPKT4_lPKT5_lS7_PT6_PKS3_21rocsparse_index_base_b.kd
    .uniform_work_group_size: 1
    .uses_dynamic_stack: false
    .vgpr_count:     18
    .vgpr_spill_count: 0
    .wavefront_size: 32
  - .args:
      - .offset:         0
        .size:           4
        .value_kind:     by_value
      - .offset:         4
        .size:           4
        .value_kind:     by_value
      - .actual_access:  read_only
        .address_space:  global
        .offset:         8
        .size:           8
        .value_kind:     global_buffer
      - .offset:         16
        .size:           8
        .value_kind:     by_value
      - .offset:         24
        .size:           4
        .value_kind:     by_value
      - .actual_access:  write_only
        .address_space:  global
        .offset:         32
        .size:           8
        .value_kind:     global_buffer
      - .actual_access:  read_only
        .address_space:  global
        .offset:         40
        .size:           8
        .value_kind:     global_buffer
      - .offset:         48
        .size:           4
        .value_kind:     by_value
    .group_segment_fixed_size: 0
    .kernarg_segment_align: 8
    .kernarg_segment_size: 52
    .language:       OpenCL C
    .language_version:
      - 2
      - 0
    .max_flat_workgroup_size: 512
    .name:           _ZN9rocsparseL23sddmm_ell_sample_kernelILi16ELi32E21rocsparse_complex_numIfEiS2_EEvT2_S3_PKT3_lS3_PS4_PKS3_21rocsparse_index_base_
    .private_segment_fixed_size: 0
    .sgpr_count:     18
    .sgpr_spill_count: 0
    .symbol:         _ZN9rocsparseL23sddmm_ell_sample_kernelILi16ELi32E21rocsparse_complex_numIfEiS2_EEvT2_S3_PKT3_lS3_PS4_PKS3_21rocsparse_index_base_.kd
    .uniform_work_group_size: 1
    .uses_dynamic_stack: false
    .vgpr_count:     10
    .vgpr_spill_count: 0
    .wavefront_size: 32
  - .args:
      - .offset:         0
        .size:           4
        .value_kind:     by_value
      - .offset:         4
        .size:           4
        .value_kind:     by_value
      - .actual_access:  read_only
        .address_space:  global
        .offset:         8
        .size:           8
        .value_kind:     global_buffer
      - .offset:         16
        .size:           8
        .value_kind:     by_value
      - .offset:         24
        .size:           4
        .value_kind:     by_value
      - .actual_access:  write_only
        .address_space:  global
        .offset:         32
        .size:           8
        .value_kind:     global_buffer
      - .actual_access:  read_only
        .address_space:  global
        .offset:         40
        .size:           8
        .value_kind:     global_buffer
      - .offset:         48
        .size:           4
        .value_kind:     by_value
    .group_segment_fixed_size: 0
    .kernarg_segment_align: 8
    .kernarg_segment_size: 52
    .language:       OpenCL C
    .language_version:
      - 2
      - 0
    .max_flat_workgroup_size: 1024
    .name:           _ZN9rocsparseL23sddmm_ell_sample_kernelILi16ELi64E21rocsparse_complex_numIfEiS2_EEvT2_S3_PKT3_lS3_PS4_PKS3_21rocsparse_index_base_
    .private_segment_fixed_size: 0
    .sgpr_count:     18
    .sgpr_spill_count: 0
    .symbol:         _ZN9rocsparseL23sddmm_ell_sample_kernelILi16ELi64E21rocsparse_complex_numIfEiS2_EEvT2_S3_PKT3_lS3_PS4_PKS3_21rocsparse_index_base_.kd
    .uniform_work_group_size: 1
    .uses_dynamic_stack: false
    .vgpr_count:     10
    .vgpr_spill_count: 0
    .wavefront_size: 32
  - .args:
      - .offset:         0
        .size:           4
        .value_kind:     by_value
      - .offset:         4
        .size:           4
        .value_kind:     by_value
      - .offset:         8
        .size:           4
        .value_kind:     by_value
      - .offset:         12
        .size:           4
        .value_kind:     by_value
      - .offset:         16
        .size:           4
        .value_kind:     by_value
      - .offset:         20
        .size:           4
        .value_kind:     by_value
      - .offset:         24
        .size:           4
        .value_kind:     by_value
      - .offset:         28
        .size:           4
        .value_kind:     by_value
      - .offset:         32
        .size:           8
        .value_kind:     by_value
      - .actual_access:  read_only
        .address_space:  global
        .offset:         40
        .size:           8
        .value_kind:     global_buffer
      - .offset:         48
        .size:           8
        .value_kind:     by_value
      - .actual_access:  read_only
        .address_space:  global
        .offset:         56
        .size:           8
        .value_kind:     global_buffer
      - .offset:         64
        .size:           8
        .value_kind:     by_value
      - .offset:         72
        .size:           8
        .value_kind:     by_value
      - .address_space:  global
        .offset:         80
        .size:           8
        .value_kind:     global_buffer
      - .actual_access:  read_only
        .address_space:  global
        .offset:         88
        .size:           8
        .value_kind:     global_buffer
      - .offset:         96
        .size:           4
        .value_kind:     by_value
      - .offset:         100
        .size:           1
        .value_kind:     by_value
    .group_segment_fixed_size: 4096
    .kernarg_segment_align: 8
    .kernarg_segment_size: 104
    .language:       OpenCL C
    .language_version:
      - 2
      - 0
    .max_flat_workgroup_size: 512
    .name:           _ZN9rocsparseL16sddmm_ell_kernelILi512ELi8E21rocsparse_complex_numIfEiiS2_S2_S2_EEv20rocsparse_operation_S3_16rocsparse_order_S4_T3_S5_S5_T2_NS_24const_host_device_scalarIT1_EEPKT4_lPKT5_lS9_PT6_PKS5_21rocsparse_index_base_b
    .private_segment_fixed_size: 0
    .sgpr_count:     17
    .sgpr_spill_count: 0
    .symbol:         _ZN9rocsparseL16sddmm_ell_kernelILi512ELi8E21rocsparse_complex_numIfEiiS2_S2_S2_EEv20rocsparse_operation_S3_16rocsparse_order_S4_T3_S5_S5_T2_NS_24const_host_device_scalarIT1_EEPKT4_lPKT5_lS9_PT6_PKS5_21rocsparse_index_base_b.kd
    .uniform_work_group_size: 1
    .uses_dynamic_stack: false
    .vgpr_count:     22
    .vgpr_spill_count: 0
    .wavefront_size: 32
  - .args:
      - .offset:         0
        .size:           4
        .value_kind:     by_value
      - .offset:         4
        .size:           4
        .value_kind:     by_value
      - .offset:         8
        .size:           4
        .value_kind:     by_value
      - .offset:         12
        .size:           4
        .value_kind:     by_value
      - .offset:         16
        .size:           4
        .value_kind:     by_value
      - .offset:         20
        .size:           4
        .value_kind:     by_value
      - .offset:         24
        .size:           4
        .value_kind:     by_value
      - .offset:         28
        .size:           4
        .value_kind:     by_value
      - .offset:         32
        .size:           8
        .value_kind:     by_value
      - .actual_access:  read_only
        .address_space:  global
        .offset:         40
        .size:           8
        .value_kind:     global_buffer
      - .offset:         48
        .size:           8
        .value_kind:     by_value
      - .actual_access:  read_only
        .address_space:  global
        .offset:         56
        .size:           8
        .value_kind:     global_buffer
      - .offset:         64
        .size:           8
        .value_kind:     by_value
      - .offset:         72
        .size:           8
        .value_kind:     by_value
      - .address_space:  global
        .offset:         80
        .size:           8
        .value_kind:     global_buffer
      - .actual_access:  read_only
        .address_space:  global
        .offset:         88
        .size:           8
        .value_kind:     global_buffer
      - .offset:         96
        .size:           4
        .value_kind:     by_value
      - .offset:         100
        .size:           1
        .value_kind:     by_value
    .group_segment_fixed_size: 4096
    .kernarg_segment_align: 8
    .kernarg_segment_size: 104
    .language:       OpenCL C
    .language_version:
      - 2
      - 0
    .max_flat_workgroup_size: 512
    .name:           _ZN9rocsparseL16sddmm_ell_kernelILi512ELi4E21rocsparse_complex_numIfEiiS2_S2_S2_EEv20rocsparse_operation_S3_16rocsparse_order_S4_T3_S5_S5_T2_NS_24const_host_device_scalarIT1_EEPKT4_lPKT5_lS9_PT6_PKS5_21rocsparse_index_base_b
    .private_segment_fixed_size: 0
    .sgpr_count:     17
    .sgpr_spill_count: 0
    .symbol:         _ZN9rocsparseL16sddmm_ell_kernelILi512ELi4E21rocsparse_complex_numIfEiiS2_S2_S2_EEv20rocsparse_operation_S3_16rocsparse_order_S4_T3_S5_S5_T2_NS_24const_host_device_scalarIT1_EEPKT4_lPKT5_lS9_PT6_PKS5_21rocsparse_index_base_b.kd
    .uniform_work_group_size: 1
    .uses_dynamic_stack: false
    .vgpr_count:     22
    .vgpr_spill_count: 0
    .wavefront_size: 32
  - .args:
      - .offset:         0
        .size:           4
        .value_kind:     by_value
      - .offset:         4
        .size:           4
        .value_kind:     by_value
      - .offset:         8
        .size:           4
        .value_kind:     by_value
      - .offset:         12
        .size:           4
        .value_kind:     by_value
      - .offset:         16
        .size:           4
        .value_kind:     by_value
      - .offset:         20
        .size:           4
        .value_kind:     by_value
      - .offset:         24
        .size:           4
        .value_kind:     by_value
      - .offset:         28
        .size:           4
        .value_kind:     by_value
      - .offset:         32
        .size:           8
        .value_kind:     by_value
      - .actual_access:  read_only
        .address_space:  global
        .offset:         40
        .size:           8
        .value_kind:     global_buffer
      - .offset:         48
        .size:           8
        .value_kind:     by_value
      - .actual_access:  read_only
        .address_space:  global
        .offset:         56
        .size:           8
        .value_kind:     global_buffer
      - .offset:         64
        .size:           8
        .value_kind:     by_value
      - .offset:         72
        .size:           8
        .value_kind:     by_value
      - .address_space:  global
        .offset:         80
        .size:           8
        .value_kind:     global_buffer
      - .actual_access:  read_only
        .address_space:  global
        .offset:         88
        .size:           8
        .value_kind:     global_buffer
      - .offset:         96
        .size:           4
        .value_kind:     by_value
      - .offset:         100
        .size:           1
        .value_kind:     by_value
    .group_segment_fixed_size: 4096
    .kernarg_segment_align: 8
    .kernarg_segment_size: 104
    .language:       OpenCL C
    .language_version:
      - 2
      - 0
    .max_flat_workgroup_size: 512
    .name:           _ZN9rocsparseL16sddmm_ell_kernelILi512ELi2E21rocsparse_complex_numIfEiiS2_S2_S2_EEv20rocsparse_operation_S3_16rocsparse_order_S4_T3_S5_S5_T2_NS_24const_host_device_scalarIT1_EEPKT4_lPKT5_lS9_PT6_PKS5_21rocsparse_index_base_b
    .private_segment_fixed_size: 0
    .sgpr_count:     17
    .sgpr_spill_count: 0
    .symbol:         _ZN9rocsparseL16sddmm_ell_kernelILi512ELi2E21rocsparse_complex_numIfEiiS2_S2_S2_EEv20rocsparse_operation_S3_16rocsparse_order_S4_T3_S5_S5_T2_NS_24const_host_device_scalarIT1_EEPKT4_lPKT5_lS9_PT6_PKS5_21rocsparse_index_base_b.kd
    .uniform_work_group_size: 1
    .uses_dynamic_stack: false
    .vgpr_count:     22
    .vgpr_spill_count: 0
    .wavefront_size: 32
  - .args:
      - .offset:         0
        .size:           4
        .value_kind:     by_value
      - .offset:         4
        .size:           4
        .value_kind:     by_value
      - .offset:         8
        .size:           4
        .value_kind:     by_value
      - .offset:         12
        .size:           4
        .value_kind:     by_value
      - .offset:         16
        .size:           4
        .value_kind:     by_value
      - .offset:         20
        .size:           4
        .value_kind:     by_value
      - .offset:         24
        .size:           4
        .value_kind:     by_value
      - .offset:         28
        .size:           4
        .value_kind:     by_value
      - .offset:         32
        .size:           8
        .value_kind:     by_value
      - .actual_access:  read_only
        .address_space:  global
        .offset:         40
        .size:           8
        .value_kind:     global_buffer
      - .offset:         48
        .size:           8
        .value_kind:     by_value
      - .actual_access:  read_only
        .address_space:  global
        .offset:         56
        .size:           8
        .value_kind:     global_buffer
      - .offset:         64
        .size:           8
        .value_kind:     by_value
      - .offset:         72
        .size:           8
        .value_kind:     by_value
      - .address_space:  global
        .offset:         80
        .size:           8
        .value_kind:     global_buffer
      - .actual_access:  read_only
        .address_space:  global
        .offset:         88
        .size:           8
        .value_kind:     global_buffer
      - .offset:         96
        .size:           4
        .value_kind:     by_value
      - .offset:         100
        .size:           1
        .value_kind:     by_value
    .group_segment_fixed_size: 4096
    .kernarg_segment_align: 8
    .kernarg_segment_size: 104
    .language:       OpenCL C
    .language_version:
      - 2
      - 0
    .max_flat_workgroup_size: 512
    .name:           _ZN9rocsparseL16sddmm_ell_kernelILi512ELi1E21rocsparse_complex_numIfEiiS2_S2_S2_EEv20rocsparse_operation_S3_16rocsparse_order_S4_T3_S5_S5_T2_NS_24const_host_device_scalarIT1_EEPKT4_lPKT5_lS9_PT6_PKS5_21rocsparse_index_base_b
    .private_segment_fixed_size: 0
    .sgpr_count:     20
    .sgpr_spill_count: 0
    .symbol:         _ZN9rocsparseL16sddmm_ell_kernelILi512ELi1E21rocsparse_complex_numIfEiiS2_S2_S2_EEv20rocsparse_operation_S3_16rocsparse_order_S4_T3_S5_S5_T2_NS_24const_host_device_scalarIT1_EEPKT4_lPKT5_lS9_PT6_PKS5_21rocsparse_index_base_b.kd
    .uniform_work_group_size: 1
    .uses_dynamic_stack: false
    .vgpr_count:     20
    .vgpr_spill_count: 0
    .wavefront_size: 32
  - .args:
      - .offset:         0
        .size:           4
        .value_kind:     by_value
      - .offset:         4
        .size:           4
        .value_kind:     by_value
      - .actual_access:  read_only
        .address_space:  global
        .offset:         8
        .size:           8
        .value_kind:     global_buffer
      - .offset:         16
        .size:           8
        .value_kind:     by_value
      - .offset:         24
        .size:           4
        .value_kind:     by_value
      - .actual_access:  write_only
        .address_space:  global
        .offset:         32
        .size:           8
        .value_kind:     global_buffer
      - .actual_access:  read_only
        .address_space:  global
        .offset:         40
        .size:           8
        .value_kind:     global_buffer
      - .offset:         48
        .size:           4
        .value_kind:     by_value
    .group_segment_fixed_size: 0
    .kernarg_segment_align: 8
    .kernarg_segment_size: 52
    .language:       OpenCL C
    .language_version:
      - 2
      - 0
    .max_flat_workgroup_size: 512
    .name:           _ZN9rocsparseL23sddmm_ell_sample_kernelILi16ELi32E21rocsparse_complex_numIdEiS2_EEvT2_S3_PKT3_lS3_PS4_PKS3_21rocsparse_index_base_
    .private_segment_fixed_size: 0
    .sgpr_count:     18
    .sgpr_spill_count: 0
    .symbol:         _ZN9rocsparseL23sddmm_ell_sample_kernelILi16ELi32E21rocsparse_complex_numIdEiS2_EEvT2_S3_PKT3_lS3_PS4_PKS3_21rocsparse_index_base_.kd
    .uniform_work_group_size: 1
    .uses_dynamic_stack: false
    .vgpr_count:     12
    .vgpr_spill_count: 0
    .wavefront_size: 32
  - .args:
      - .offset:         0
        .size:           4
        .value_kind:     by_value
      - .offset:         4
        .size:           4
        .value_kind:     by_value
      - .actual_access:  read_only
        .address_space:  global
        .offset:         8
        .size:           8
        .value_kind:     global_buffer
      - .offset:         16
        .size:           8
        .value_kind:     by_value
      - .offset:         24
        .size:           4
        .value_kind:     by_value
      - .actual_access:  write_only
        .address_space:  global
        .offset:         32
        .size:           8
        .value_kind:     global_buffer
      - .actual_access:  read_only
        .address_space:  global
        .offset:         40
        .size:           8
        .value_kind:     global_buffer
      - .offset:         48
        .size:           4
        .value_kind:     by_value
    .group_segment_fixed_size: 0
    .kernarg_segment_align: 8
    .kernarg_segment_size: 52
    .language:       OpenCL C
    .language_version:
      - 2
      - 0
    .max_flat_workgroup_size: 1024
    .name:           _ZN9rocsparseL23sddmm_ell_sample_kernelILi16ELi64E21rocsparse_complex_numIdEiS2_EEvT2_S3_PKT3_lS3_PS4_PKS3_21rocsparse_index_base_
    .private_segment_fixed_size: 0
    .sgpr_count:     18
    .sgpr_spill_count: 0
    .symbol:         _ZN9rocsparseL23sddmm_ell_sample_kernelILi16ELi64E21rocsparse_complex_numIdEiS2_EEvT2_S3_PKT3_lS3_PS4_PKS3_21rocsparse_index_base_.kd
    .uniform_work_group_size: 1
    .uses_dynamic_stack: false
    .vgpr_count:     12
    .vgpr_spill_count: 0
    .wavefront_size: 32
  - .args:
      - .offset:         0
        .size:           4
        .value_kind:     by_value
      - .offset:         4
        .size:           4
        .value_kind:     by_value
      - .offset:         8
        .size:           4
        .value_kind:     by_value
      - .offset:         12
        .size:           4
        .value_kind:     by_value
      - .offset:         16
        .size:           4
        .value_kind:     by_value
      - .offset:         20
        .size:           4
        .value_kind:     by_value
      - .offset:         24
        .size:           4
        .value_kind:     by_value
      - .offset:         28
        .size:           4
        .value_kind:     by_value
      - .offset:         32
        .size:           16
        .value_kind:     by_value
      - .actual_access:  read_only
        .address_space:  global
        .offset:         48
        .size:           8
        .value_kind:     global_buffer
      - .offset:         56
        .size:           8
        .value_kind:     by_value
      - .actual_access:  read_only
        .address_space:  global
        .offset:         64
        .size:           8
        .value_kind:     global_buffer
      - .offset:         72
        .size:           8
        .value_kind:     by_value
      - .offset:         80
        .size:           16
        .value_kind:     by_value
      - .address_space:  global
        .offset:         96
        .size:           8
        .value_kind:     global_buffer
      - .actual_access:  read_only
        .address_space:  global
        .offset:         104
        .size:           8
        .value_kind:     global_buffer
      - .offset:         112
        .size:           4
        .value_kind:     by_value
      - .offset:         116
        .size:           1
        .value_kind:     by_value
    .group_segment_fixed_size: 8192
    .kernarg_segment_align: 8
    .kernarg_segment_size: 120
    .language:       OpenCL C
    .language_version:
      - 2
      - 0
    .max_flat_workgroup_size: 512
    .name:           _ZN9rocsparseL16sddmm_ell_kernelILi512ELi8E21rocsparse_complex_numIdEiiS2_S2_S2_EEv20rocsparse_operation_S3_16rocsparse_order_S4_T3_S5_S5_T2_NS_24const_host_device_scalarIT1_EEPKT4_lPKT5_lS9_PT6_PKS5_21rocsparse_index_base_b
    .private_segment_fixed_size: 0
    .sgpr_count:     17
    .sgpr_spill_count: 0
    .symbol:         _ZN9rocsparseL16sddmm_ell_kernelILi512ELi8E21rocsparse_complex_numIdEiiS2_S2_S2_EEv20rocsparse_operation_S3_16rocsparse_order_S4_T3_S5_S5_T2_NS_24const_host_device_scalarIT1_EEPKT4_lPKT5_lS9_PT6_PKS5_21rocsparse_index_base_b.kd
    .uniform_work_group_size: 1
    .uses_dynamic_stack: false
    .vgpr_count:     32
    .vgpr_spill_count: 0
    .wavefront_size: 32
  - .args:
      - .offset:         0
        .size:           4
        .value_kind:     by_value
      - .offset:         4
        .size:           4
        .value_kind:     by_value
      - .offset:         8
        .size:           4
        .value_kind:     by_value
      - .offset:         12
        .size:           4
        .value_kind:     by_value
      - .offset:         16
        .size:           4
        .value_kind:     by_value
      - .offset:         20
        .size:           4
        .value_kind:     by_value
      - .offset:         24
        .size:           4
        .value_kind:     by_value
      - .offset:         28
        .size:           4
        .value_kind:     by_value
      - .offset:         32
        .size:           16
        .value_kind:     by_value
      - .actual_access:  read_only
        .address_space:  global
        .offset:         48
        .size:           8
        .value_kind:     global_buffer
      - .offset:         56
        .size:           8
        .value_kind:     by_value
      - .actual_access:  read_only
        .address_space:  global
        .offset:         64
        .size:           8
        .value_kind:     global_buffer
      - .offset:         72
        .size:           8
        .value_kind:     by_value
      - .offset:         80
        .size:           16
        .value_kind:     by_value
      - .address_space:  global
        .offset:         96
        .size:           8
        .value_kind:     global_buffer
      - .actual_access:  read_only
        .address_space:  global
        .offset:         104
        .size:           8
        .value_kind:     global_buffer
      - .offset:         112
        .size:           4
        .value_kind:     by_value
      - .offset:         116
        .size:           1
        .value_kind:     by_value
    .group_segment_fixed_size: 8192
    .kernarg_segment_align: 8
    .kernarg_segment_size: 120
    .language:       OpenCL C
    .language_version:
      - 2
      - 0
    .max_flat_workgroup_size: 512
    .name:           _ZN9rocsparseL16sddmm_ell_kernelILi512ELi4E21rocsparse_complex_numIdEiiS2_S2_S2_EEv20rocsparse_operation_S3_16rocsparse_order_S4_T3_S5_S5_T2_NS_24const_host_device_scalarIT1_EEPKT4_lPKT5_lS9_PT6_PKS5_21rocsparse_index_base_b
    .private_segment_fixed_size: 0
    .sgpr_count:     17
    .sgpr_spill_count: 0
    .symbol:         _ZN9rocsparseL16sddmm_ell_kernelILi512ELi4E21rocsparse_complex_numIdEiiS2_S2_S2_EEv20rocsparse_operation_S3_16rocsparse_order_S4_T3_S5_S5_T2_NS_24const_host_device_scalarIT1_EEPKT4_lPKT5_lS9_PT6_PKS5_21rocsparse_index_base_b.kd
    .uniform_work_group_size: 1
    .uses_dynamic_stack: false
    .vgpr_count:     32
    .vgpr_spill_count: 0
    .wavefront_size: 32
  - .args:
      - .offset:         0
        .size:           4
        .value_kind:     by_value
      - .offset:         4
        .size:           4
        .value_kind:     by_value
      - .offset:         8
        .size:           4
        .value_kind:     by_value
      - .offset:         12
        .size:           4
        .value_kind:     by_value
      - .offset:         16
        .size:           4
        .value_kind:     by_value
      - .offset:         20
        .size:           4
        .value_kind:     by_value
      - .offset:         24
        .size:           4
        .value_kind:     by_value
      - .offset:         28
        .size:           4
        .value_kind:     by_value
      - .offset:         32
        .size:           16
        .value_kind:     by_value
      - .actual_access:  read_only
        .address_space:  global
        .offset:         48
        .size:           8
        .value_kind:     global_buffer
      - .offset:         56
        .size:           8
        .value_kind:     by_value
      - .actual_access:  read_only
        .address_space:  global
        .offset:         64
        .size:           8
        .value_kind:     global_buffer
      - .offset:         72
        .size:           8
        .value_kind:     by_value
      - .offset:         80
        .size:           16
        .value_kind:     by_value
      - .address_space:  global
        .offset:         96
        .size:           8
        .value_kind:     global_buffer
      - .actual_access:  read_only
        .address_space:  global
        .offset:         104
        .size:           8
        .value_kind:     global_buffer
      - .offset:         112
        .size:           4
        .value_kind:     by_value
      - .offset:         116
        .size:           1
        .value_kind:     by_value
    .group_segment_fixed_size: 8192
    .kernarg_segment_align: 8
    .kernarg_segment_size: 120
    .language:       OpenCL C
    .language_version:
      - 2
      - 0
    .max_flat_workgroup_size: 512
    .name:           _ZN9rocsparseL16sddmm_ell_kernelILi512ELi2E21rocsparse_complex_numIdEiiS2_S2_S2_EEv20rocsparse_operation_S3_16rocsparse_order_S4_T3_S5_S5_T2_NS_24const_host_device_scalarIT1_EEPKT4_lPKT5_lS9_PT6_PKS5_21rocsparse_index_base_b
    .private_segment_fixed_size: 0
    .sgpr_count:     17
    .sgpr_spill_count: 0
    .symbol:         _ZN9rocsparseL16sddmm_ell_kernelILi512ELi2E21rocsparse_complex_numIdEiiS2_S2_S2_EEv20rocsparse_operation_S3_16rocsparse_order_S4_T3_S5_S5_T2_NS_24const_host_device_scalarIT1_EEPKT4_lPKT5_lS9_PT6_PKS5_21rocsparse_index_base_b.kd
    .uniform_work_group_size: 1
    .uses_dynamic_stack: false
    .vgpr_count:     32
    .vgpr_spill_count: 0
    .wavefront_size: 32
  - .args:
      - .offset:         0
        .size:           4
        .value_kind:     by_value
      - .offset:         4
        .size:           4
        .value_kind:     by_value
      - .offset:         8
        .size:           4
        .value_kind:     by_value
      - .offset:         12
        .size:           4
        .value_kind:     by_value
      - .offset:         16
        .size:           4
        .value_kind:     by_value
      - .offset:         20
        .size:           4
        .value_kind:     by_value
      - .offset:         24
        .size:           4
        .value_kind:     by_value
      - .offset:         28
        .size:           4
        .value_kind:     by_value
      - .offset:         32
        .size:           16
        .value_kind:     by_value
      - .actual_access:  read_only
        .address_space:  global
        .offset:         48
        .size:           8
        .value_kind:     global_buffer
      - .offset:         56
        .size:           8
        .value_kind:     by_value
      - .actual_access:  read_only
        .address_space:  global
        .offset:         64
        .size:           8
        .value_kind:     global_buffer
      - .offset:         72
        .size:           8
        .value_kind:     by_value
      - .offset:         80
        .size:           16
        .value_kind:     by_value
      - .address_space:  global
        .offset:         96
        .size:           8
        .value_kind:     global_buffer
      - .actual_access:  read_only
        .address_space:  global
        .offset:         104
        .size:           8
        .value_kind:     global_buffer
      - .offset:         112
        .size:           4
        .value_kind:     by_value
      - .offset:         116
        .size:           1
        .value_kind:     by_value
    .group_segment_fixed_size: 8192
    .kernarg_segment_align: 8
    .kernarg_segment_size: 120
    .language:       OpenCL C
    .language_version:
      - 2
      - 0
    .max_flat_workgroup_size: 512
    .name:           _ZN9rocsparseL16sddmm_ell_kernelILi512ELi1E21rocsparse_complex_numIdEiiS2_S2_S2_EEv20rocsparse_operation_S3_16rocsparse_order_S4_T3_S5_S5_T2_NS_24const_host_device_scalarIT1_EEPKT4_lPKT5_lS9_PT6_PKS5_21rocsparse_index_base_b
    .private_segment_fixed_size: 0
    .sgpr_count:     20
    .sgpr_spill_count: 0
    .symbol:         _ZN9rocsparseL16sddmm_ell_kernelILi512ELi1E21rocsparse_complex_numIdEiiS2_S2_S2_EEv20rocsparse_operation_S3_16rocsparse_order_S4_T3_S5_S5_T2_NS_24const_host_device_scalarIT1_EEPKT4_lPKT5_lS9_PT6_PKS5_21rocsparse_index_base_b.kd
    .uniform_work_group_size: 1
    .uses_dynamic_stack: false
    .vgpr_count:     30
    .vgpr_spill_count: 0
    .wavefront_size: 32
  - .args:
      - .offset:         0
        .size:           8
        .value_kind:     by_value
      - .offset:         8
        .size:           8
        .value_kind:     by_value
      - .actual_access:  read_only
        .address_space:  global
        .offset:         16
        .size:           8
        .value_kind:     global_buffer
      - .offset:         24
        .size:           8
        .value_kind:     by_value
      - .offset:         32
        .size:           8
        .value_kind:     by_value
      - .actual_access:  write_only
        .address_space:  global
        .offset:         40
        .size:           8
        .value_kind:     global_buffer
      - .actual_access:  read_only
        .address_space:  global
        .offset:         48
        .size:           8
        .value_kind:     global_buffer
      - .offset:         56
        .size:           4
        .value_kind:     by_value
    .group_segment_fixed_size: 0
    .kernarg_segment_align: 8
    .kernarg_segment_size: 60
    .language:       OpenCL C
    .language_version:
      - 2
      - 0
    .max_flat_workgroup_size: 512
    .name:           _ZN9rocsparseL23sddmm_ell_sample_kernelILi16ELi32EDF16_lDF16_EEvT2_S1_PKT3_lS1_PS2_PKS1_21rocsparse_index_base_
    .private_segment_fixed_size: 0
    .sgpr_count:     18
    .sgpr_spill_count: 0
    .symbol:         _ZN9rocsparseL23sddmm_ell_sample_kernelILi16ELi32EDF16_lDF16_EEvT2_S1_PKT3_lS1_PS2_PKS1_21rocsparse_index_base_.kd
    .uniform_work_group_size: 1
    .uses_dynamic_stack: false
    .vgpr_count:     12
    .vgpr_spill_count: 0
    .wavefront_size: 32
  - .args:
      - .offset:         0
        .size:           8
        .value_kind:     by_value
      - .offset:         8
        .size:           8
        .value_kind:     by_value
      - .actual_access:  read_only
        .address_space:  global
        .offset:         16
        .size:           8
        .value_kind:     global_buffer
      - .offset:         24
        .size:           8
        .value_kind:     by_value
      - .offset:         32
        .size:           8
        .value_kind:     by_value
      - .actual_access:  write_only
        .address_space:  global
        .offset:         40
        .size:           8
        .value_kind:     global_buffer
      - .actual_access:  read_only
        .address_space:  global
        .offset:         48
        .size:           8
        .value_kind:     global_buffer
      - .offset:         56
        .size:           4
        .value_kind:     by_value
    .group_segment_fixed_size: 0
    .kernarg_segment_align: 8
    .kernarg_segment_size: 60
    .language:       OpenCL C
    .language_version:
      - 2
      - 0
    .max_flat_workgroup_size: 1024
    .name:           _ZN9rocsparseL23sddmm_ell_sample_kernelILi16ELi64EDF16_lDF16_EEvT2_S1_PKT3_lS1_PS2_PKS1_21rocsparse_index_base_
    .private_segment_fixed_size: 0
    .sgpr_count:     18
    .sgpr_spill_count: 0
    .symbol:         _ZN9rocsparseL23sddmm_ell_sample_kernelILi16ELi64EDF16_lDF16_EEvT2_S1_PKT3_lS1_PS2_PKS1_21rocsparse_index_base_.kd
    .uniform_work_group_size: 1
    .uses_dynamic_stack: false
    .vgpr_count:     12
    .vgpr_spill_count: 0
    .wavefront_size: 32
  - .args:
      - .offset:         0
        .size:           4
        .value_kind:     by_value
      - .offset:         4
        .size:           4
        .value_kind:     by_value
      - .offset:         8
        .size:           4
        .value_kind:     by_value
      - .offset:         12
        .size:           4
        .value_kind:     by_value
      - .offset:         16
        .size:           8
        .value_kind:     by_value
      - .offset:         24
        .size:           8
        .value_kind:     by_value
      - .offset:         32
        .size:           8
        .value_kind:     by_value
      - .offset:         40
        .size:           8
        .value_kind:     by_value
      - .offset:         48
        .size:           8
        .value_kind:     by_value
      - .actual_access:  read_only
        .address_space:  global
        .offset:         56
        .size:           8
        .value_kind:     global_buffer
      - .offset:         64
        .size:           8
        .value_kind:     by_value
      - .actual_access:  read_only
        .address_space:  global
        .offset:         72
        .size:           8
        .value_kind:     global_buffer
      - .offset:         80
        .size:           8
        .value_kind:     by_value
      - .offset:         88
        .size:           8
        .value_kind:     by_value
      - .address_space:  global
        .offset:         96
        .size:           8
        .value_kind:     global_buffer
      - .actual_access:  read_only
        .address_space:  global
        .offset:         104
        .size:           8
        .value_kind:     global_buffer
      - .offset:         112
        .size:           4
        .value_kind:     by_value
      - .offset:         116
        .size:           1
        .value_kind:     by_value
    .group_segment_fixed_size: 1024
    .kernarg_segment_align: 8
    .kernarg_segment_size: 120
    .language:       OpenCL C
    .language_version:
      - 2
      - 0
    .max_flat_workgroup_size: 512
    .name:           _ZN9rocsparseL16sddmm_ell_kernelILi512ELi8EDF16_llDF16_DF16_DF16_EEv20rocsparse_operation_S1_16rocsparse_order_S2_T3_S3_S3_T2_NS_24const_host_device_scalarIT1_EEPKT4_lPKT5_lS7_PT6_PKS3_21rocsparse_index_base_b
    .private_segment_fixed_size: 0
    .sgpr_count:     26
    .sgpr_spill_count: 0
    .symbol:         _ZN9rocsparseL16sddmm_ell_kernelILi512ELi8EDF16_llDF16_DF16_DF16_EEv20rocsparse_operation_S1_16rocsparse_order_S2_T3_S3_S3_T2_NS_24const_host_device_scalarIT1_EEPKT4_lPKT5_lS7_PT6_PKS3_21rocsparse_index_base_b.kd
    .uniform_work_group_size: 1
    .uses_dynamic_stack: false
    .vgpr_count:     18
    .vgpr_spill_count: 0
    .wavefront_size: 32
  - .args:
      - .offset:         0
        .size:           4
        .value_kind:     by_value
      - .offset:         4
        .size:           4
        .value_kind:     by_value
      - .offset:         8
        .size:           4
        .value_kind:     by_value
      - .offset:         12
        .size:           4
        .value_kind:     by_value
      - .offset:         16
        .size:           8
        .value_kind:     by_value
      - .offset:         24
        .size:           8
        .value_kind:     by_value
      - .offset:         32
        .size:           8
        .value_kind:     by_value
      - .offset:         40
        .size:           8
        .value_kind:     by_value
      - .offset:         48
        .size:           8
        .value_kind:     by_value
      - .actual_access:  read_only
        .address_space:  global
        .offset:         56
        .size:           8
        .value_kind:     global_buffer
      - .offset:         64
        .size:           8
        .value_kind:     by_value
      - .actual_access:  read_only
        .address_space:  global
        .offset:         72
        .size:           8
        .value_kind:     global_buffer
      - .offset:         80
        .size:           8
        .value_kind:     by_value
      - .offset:         88
        .size:           8
        .value_kind:     by_value
      - .address_space:  global
        .offset:         96
        .size:           8
        .value_kind:     global_buffer
      - .actual_access:  read_only
        .address_space:  global
        .offset:         104
        .size:           8
        .value_kind:     global_buffer
      - .offset:         112
        .size:           4
        .value_kind:     by_value
      - .offset:         116
        .size:           1
        .value_kind:     by_value
    .group_segment_fixed_size: 1024
    .kernarg_segment_align: 8
    .kernarg_segment_size: 120
    .language:       OpenCL C
    .language_version:
      - 2
      - 0
    .max_flat_workgroup_size: 512
    .name:           _ZN9rocsparseL16sddmm_ell_kernelILi512ELi4EDF16_llDF16_DF16_DF16_EEv20rocsparse_operation_S1_16rocsparse_order_S2_T3_S3_S3_T2_NS_24const_host_device_scalarIT1_EEPKT4_lPKT5_lS7_PT6_PKS3_21rocsparse_index_base_b
    .private_segment_fixed_size: 0
    .sgpr_count:     26
    .sgpr_spill_count: 0
    .symbol:         _ZN9rocsparseL16sddmm_ell_kernelILi512ELi4EDF16_llDF16_DF16_DF16_EEv20rocsparse_operation_S1_16rocsparse_order_S2_T3_S3_S3_T2_NS_24const_host_device_scalarIT1_EEPKT4_lPKT5_lS7_PT6_PKS3_21rocsparse_index_base_b.kd
    .uniform_work_group_size: 1
    .uses_dynamic_stack: false
    .vgpr_count:     18
    .vgpr_spill_count: 0
    .wavefront_size: 32
  - .args:
      - .offset:         0
        .size:           4
        .value_kind:     by_value
      - .offset:         4
        .size:           4
        .value_kind:     by_value
      - .offset:         8
        .size:           4
        .value_kind:     by_value
      - .offset:         12
        .size:           4
        .value_kind:     by_value
      - .offset:         16
        .size:           8
        .value_kind:     by_value
      - .offset:         24
        .size:           8
        .value_kind:     by_value
      - .offset:         32
        .size:           8
        .value_kind:     by_value
      - .offset:         40
        .size:           8
        .value_kind:     by_value
      - .offset:         48
        .size:           8
        .value_kind:     by_value
      - .actual_access:  read_only
        .address_space:  global
        .offset:         56
        .size:           8
        .value_kind:     global_buffer
      - .offset:         64
        .size:           8
        .value_kind:     by_value
      - .actual_access:  read_only
        .address_space:  global
        .offset:         72
        .size:           8
        .value_kind:     global_buffer
      - .offset:         80
        .size:           8
        .value_kind:     by_value
      - .offset:         88
        .size:           8
        .value_kind:     by_value
      - .address_space:  global
        .offset:         96
        .size:           8
        .value_kind:     global_buffer
      - .actual_access:  read_only
        .address_space:  global
        .offset:         104
        .size:           8
        .value_kind:     global_buffer
      - .offset:         112
        .size:           4
        .value_kind:     by_value
      - .offset:         116
        .size:           1
        .value_kind:     by_value
    .group_segment_fixed_size: 1024
    .kernarg_segment_align: 8
    .kernarg_segment_size: 120
    .language:       OpenCL C
    .language_version:
      - 2
      - 0
    .max_flat_workgroup_size: 512
    .name:           _ZN9rocsparseL16sddmm_ell_kernelILi512ELi2EDF16_llDF16_DF16_DF16_EEv20rocsparse_operation_S1_16rocsparse_order_S2_T3_S3_S3_T2_NS_24const_host_device_scalarIT1_EEPKT4_lPKT5_lS7_PT6_PKS3_21rocsparse_index_base_b
    .private_segment_fixed_size: 0
    .sgpr_count:     26
    .sgpr_spill_count: 0
    .symbol:         _ZN9rocsparseL16sddmm_ell_kernelILi512ELi2EDF16_llDF16_DF16_DF16_EEv20rocsparse_operation_S1_16rocsparse_order_S2_T3_S3_S3_T2_NS_24const_host_device_scalarIT1_EEPKT4_lPKT5_lS7_PT6_PKS3_21rocsparse_index_base_b.kd
    .uniform_work_group_size: 1
    .uses_dynamic_stack: false
    .vgpr_count:     18
    .vgpr_spill_count: 0
    .wavefront_size: 32
  - .args:
      - .offset:         0
        .size:           4
        .value_kind:     by_value
      - .offset:         4
        .size:           4
        .value_kind:     by_value
      - .offset:         8
        .size:           4
        .value_kind:     by_value
      - .offset:         12
        .size:           4
        .value_kind:     by_value
      - .offset:         16
        .size:           8
        .value_kind:     by_value
      - .offset:         24
        .size:           8
        .value_kind:     by_value
      - .offset:         32
        .size:           8
        .value_kind:     by_value
      - .offset:         40
        .size:           8
        .value_kind:     by_value
      - .offset:         48
        .size:           8
        .value_kind:     by_value
      - .actual_access:  read_only
        .address_space:  global
        .offset:         56
        .size:           8
        .value_kind:     global_buffer
      - .offset:         64
        .size:           8
        .value_kind:     by_value
      - .actual_access:  read_only
        .address_space:  global
        .offset:         72
        .size:           8
        .value_kind:     global_buffer
      - .offset:         80
        .size:           8
        .value_kind:     by_value
      - .offset:         88
        .size:           8
        .value_kind:     by_value
      - .address_space:  global
        .offset:         96
        .size:           8
        .value_kind:     global_buffer
      - .actual_access:  read_only
        .address_space:  global
        .offset:         104
        .size:           8
        .value_kind:     global_buffer
      - .offset:         112
        .size:           4
        .value_kind:     by_value
      - .offset:         116
        .size:           1
        .value_kind:     by_value
    .group_segment_fixed_size: 1024
    .kernarg_segment_align: 8
    .kernarg_segment_size: 120
    .language:       OpenCL C
    .language_version:
      - 2
      - 0
    .max_flat_workgroup_size: 512
    .name:           _ZN9rocsparseL16sddmm_ell_kernelILi512ELi1EDF16_llDF16_DF16_DF16_EEv20rocsparse_operation_S1_16rocsparse_order_S2_T3_S3_S3_T2_NS_24const_host_device_scalarIT1_EEPKT4_lPKT5_lS7_PT6_PKS3_21rocsparse_index_base_b
    .private_segment_fixed_size: 0
    .sgpr_count:     26
    .sgpr_spill_count: 0
    .symbol:         _ZN9rocsparseL16sddmm_ell_kernelILi512ELi1EDF16_llDF16_DF16_DF16_EEv20rocsparse_operation_S1_16rocsparse_order_S2_T3_S3_S3_T2_NS_24const_host_device_scalarIT1_EEPKT4_lPKT5_lS7_PT6_PKS3_21rocsparse_index_base_b.kd
    .uniform_work_group_size: 1
    .uses_dynamic_stack: false
    .vgpr_count:     16
    .vgpr_spill_count: 0
    .wavefront_size: 32
  - .args:
      - .offset:         0
        .size:           8
        .value_kind:     by_value
      - .offset:         8
        .size:           8
        .value_kind:     by_value
      - .actual_access:  read_only
        .address_space:  global
        .offset:         16
        .size:           8
        .value_kind:     global_buffer
      - .offset:         24
        .size:           8
        .value_kind:     by_value
      - .offset:         32
        .size:           8
        .value_kind:     by_value
      - .actual_access:  write_only
        .address_space:  global
        .offset:         40
        .size:           8
        .value_kind:     global_buffer
      - .actual_access:  read_only
        .address_space:  global
        .offset:         48
        .size:           8
        .value_kind:     global_buffer
      - .offset:         56
        .size:           4
        .value_kind:     by_value
    .group_segment_fixed_size: 0
    .kernarg_segment_align: 8
    .kernarg_segment_size: 60
    .language:       OpenCL C
    .language_version:
      - 2
      - 0
    .max_flat_workgroup_size: 512
    .name:           _ZN9rocsparseL23sddmm_ell_sample_kernelILi16ELi32EflfEEvT2_S1_PKT3_lS1_PS2_PKS1_21rocsparse_index_base_
    .private_segment_fixed_size: 0
    .sgpr_count:     18
    .sgpr_spill_count: 0
    .symbol:         _ZN9rocsparseL23sddmm_ell_sample_kernelILi16ELi32EflfEEvT2_S1_PKT3_lS1_PS2_PKS1_21rocsparse_index_base_.kd
    .uniform_work_group_size: 1
    .uses_dynamic_stack: false
    .vgpr_count:     12
    .vgpr_spill_count: 0
    .wavefront_size: 32
  - .args:
      - .offset:         0
        .size:           8
        .value_kind:     by_value
      - .offset:         8
        .size:           8
        .value_kind:     by_value
      - .actual_access:  read_only
        .address_space:  global
        .offset:         16
        .size:           8
        .value_kind:     global_buffer
      - .offset:         24
        .size:           8
        .value_kind:     by_value
      - .offset:         32
        .size:           8
        .value_kind:     by_value
      - .actual_access:  write_only
        .address_space:  global
        .offset:         40
        .size:           8
        .value_kind:     global_buffer
      - .actual_access:  read_only
        .address_space:  global
        .offset:         48
        .size:           8
        .value_kind:     global_buffer
      - .offset:         56
        .size:           4
        .value_kind:     by_value
    .group_segment_fixed_size: 0
    .kernarg_segment_align: 8
    .kernarg_segment_size: 60
    .language:       OpenCL C
    .language_version:
      - 2
      - 0
    .max_flat_workgroup_size: 1024
    .name:           _ZN9rocsparseL23sddmm_ell_sample_kernelILi16ELi64EflfEEvT2_S1_PKT3_lS1_PS2_PKS1_21rocsparse_index_base_
    .private_segment_fixed_size: 0
    .sgpr_count:     18
    .sgpr_spill_count: 0
    .symbol:         _ZN9rocsparseL23sddmm_ell_sample_kernelILi16ELi64EflfEEvT2_S1_PKT3_lS1_PS2_PKS1_21rocsparse_index_base_.kd
    .uniform_work_group_size: 1
    .uses_dynamic_stack: false
    .vgpr_count:     12
    .vgpr_spill_count: 0
    .wavefront_size: 32
  - .args:
      - .offset:         0
        .size:           4
        .value_kind:     by_value
      - .offset:         4
        .size:           4
        .value_kind:     by_value
      - .offset:         8
        .size:           4
        .value_kind:     by_value
      - .offset:         12
        .size:           4
        .value_kind:     by_value
      - .offset:         16
        .size:           8
        .value_kind:     by_value
      - .offset:         24
        .size:           8
        .value_kind:     by_value
      - .offset:         32
        .size:           8
        .value_kind:     by_value
      - .offset:         40
        .size:           8
        .value_kind:     by_value
      - .offset:         48
        .size:           8
        .value_kind:     by_value
      - .actual_access:  read_only
        .address_space:  global
        .offset:         56
        .size:           8
        .value_kind:     global_buffer
      - .offset:         64
        .size:           8
        .value_kind:     by_value
      - .actual_access:  read_only
        .address_space:  global
        .offset:         72
        .size:           8
        .value_kind:     global_buffer
      - .offset:         80
        .size:           8
        .value_kind:     by_value
      - .offset:         88
        .size:           8
        .value_kind:     by_value
      - .address_space:  global
        .offset:         96
        .size:           8
        .value_kind:     global_buffer
      - .actual_access:  read_only
        .address_space:  global
        .offset:         104
        .size:           8
        .value_kind:     global_buffer
      - .offset:         112
        .size:           4
        .value_kind:     by_value
      - .offset:         116
        .size:           1
        .value_kind:     by_value
    .group_segment_fixed_size: 2048
    .kernarg_segment_align: 8
    .kernarg_segment_size: 120
    .language:       OpenCL C
    .language_version:
      - 2
      - 0
    .max_flat_workgroup_size: 512
    .name:           _ZN9rocsparseL16sddmm_ell_kernelILi512ELi8EfllfffEEv20rocsparse_operation_S1_16rocsparse_order_S2_T3_S3_S3_T2_NS_24const_host_device_scalarIT1_EEPKT4_lPKT5_lS7_PT6_PKS3_21rocsparse_index_base_b
    .private_segment_fixed_size: 0
    .sgpr_count:     30
    .sgpr_spill_count: 0
    .symbol:         _ZN9rocsparseL16sddmm_ell_kernelILi512ELi8EfllfffEEv20rocsparse_operation_S1_16rocsparse_order_S2_T3_S3_S3_T2_NS_24const_host_device_scalarIT1_EEPKT4_lPKT5_lS7_PT6_PKS3_21rocsparse_index_base_b.kd
    .uniform_work_group_size: 1
    .uses_dynamic_stack: false
    .vgpr_count:     16
    .vgpr_spill_count: 0
    .wavefront_size: 32
  - .args:
      - .offset:         0
        .size:           4
        .value_kind:     by_value
      - .offset:         4
        .size:           4
        .value_kind:     by_value
      - .offset:         8
        .size:           4
        .value_kind:     by_value
      - .offset:         12
        .size:           4
        .value_kind:     by_value
      - .offset:         16
        .size:           8
        .value_kind:     by_value
      - .offset:         24
        .size:           8
        .value_kind:     by_value
      - .offset:         32
        .size:           8
        .value_kind:     by_value
      - .offset:         40
        .size:           8
        .value_kind:     by_value
      - .offset:         48
        .size:           8
        .value_kind:     by_value
      - .actual_access:  read_only
        .address_space:  global
        .offset:         56
        .size:           8
        .value_kind:     global_buffer
      - .offset:         64
        .size:           8
        .value_kind:     by_value
      - .actual_access:  read_only
        .address_space:  global
        .offset:         72
        .size:           8
        .value_kind:     global_buffer
      - .offset:         80
        .size:           8
        .value_kind:     by_value
      - .offset:         88
        .size:           8
        .value_kind:     by_value
      - .address_space:  global
        .offset:         96
        .size:           8
        .value_kind:     global_buffer
      - .actual_access:  read_only
        .address_space:  global
        .offset:         104
        .size:           8
        .value_kind:     global_buffer
      - .offset:         112
        .size:           4
        .value_kind:     by_value
      - .offset:         116
        .size:           1
        .value_kind:     by_value
    .group_segment_fixed_size: 2048
    .kernarg_segment_align: 8
    .kernarg_segment_size: 120
    .language:       OpenCL C
    .language_version:
      - 2
      - 0
    .max_flat_workgroup_size: 512
    .name:           _ZN9rocsparseL16sddmm_ell_kernelILi512ELi4EfllfffEEv20rocsparse_operation_S1_16rocsparse_order_S2_T3_S3_S3_T2_NS_24const_host_device_scalarIT1_EEPKT4_lPKT5_lS7_PT6_PKS3_21rocsparse_index_base_b
    .private_segment_fixed_size: 0
    .sgpr_count:     30
    .sgpr_spill_count: 0
    .symbol:         _ZN9rocsparseL16sddmm_ell_kernelILi512ELi4EfllfffEEv20rocsparse_operation_S1_16rocsparse_order_S2_T3_S3_S3_T2_NS_24const_host_device_scalarIT1_EEPKT4_lPKT5_lS7_PT6_PKS3_21rocsparse_index_base_b.kd
    .uniform_work_group_size: 1
    .uses_dynamic_stack: false
    .vgpr_count:     16
    .vgpr_spill_count: 0
    .wavefront_size: 32
  - .args:
      - .offset:         0
        .size:           4
        .value_kind:     by_value
      - .offset:         4
        .size:           4
        .value_kind:     by_value
      - .offset:         8
        .size:           4
        .value_kind:     by_value
      - .offset:         12
        .size:           4
        .value_kind:     by_value
      - .offset:         16
        .size:           8
        .value_kind:     by_value
      - .offset:         24
        .size:           8
        .value_kind:     by_value
      - .offset:         32
        .size:           8
        .value_kind:     by_value
      - .offset:         40
        .size:           8
        .value_kind:     by_value
      - .offset:         48
        .size:           8
        .value_kind:     by_value
      - .actual_access:  read_only
        .address_space:  global
        .offset:         56
        .size:           8
        .value_kind:     global_buffer
      - .offset:         64
        .size:           8
        .value_kind:     by_value
      - .actual_access:  read_only
        .address_space:  global
        .offset:         72
        .size:           8
        .value_kind:     global_buffer
      - .offset:         80
        .size:           8
        .value_kind:     by_value
      - .offset:         88
        .size:           8
        .value_kind:     by_value
      - .address_space:  global
        .offset:         96
        .size:           8
        .value_kind:     global_buffer
      - .actual_access:  read_only
        .address_space:  global
        .offset:         104
        .size:           8
        .value_kind:     global_buffer
      - .offset:         112
        .size:           4
        .value_kind:     by_value
      - .offset:         116
        .size:           1
        .value_kind:     by_value
    .group_segment_fixed_size: 2048
    .kernarg_segment_align: 8
    .kernarg_segment_size: 120
    .language:       OpenCL C
    .language_version:
      - 2
      - 0
    .max_flat_workgroup_size: 512
    .name:           _ZN9rocsparseL16sddmm_ell_kernelILi512ELi2EfllfffEEv20rocsparse_operation_S1_16rocsparse_order_S2_T3_S3_S3_T2_NS_24const_host_device_scalarIT1_EEPKT4_lPKT5_lS7_PT6_PKS3_21rocsparse_index_base_b
    .private_segment_fixed_size: 0
    .sgpr_count:     30
    .sgpr_spill_count: 0
    .symbol:         _ZN9rocsparseL16sddmm_ell_kernelILi512ELi2EfllfffEEv20rocsparse_operation_S1_16rocsparse_order_S2_T3_S3_S3_T2_NS_24const_host_device_scalarIT1_EEPKT4_lPKT5_lS7_PT6_PKS3_21rocsparse_index_base_b.kd
    .uniform_work_group_size: 1
    .uses_dynamic_stack: false
    .vgpr_count:     16
    .vgpr_spill_count: 0
    .wavefront_size: 32
  - .args:
      - .offset:         0
        .size:           4
        .value_kind:     by_value
      - .offset:         4
        .size:           4
        .value_kind:     by_value
      - .offset:         8
        .size:           4
        .value_kind:     by_value
      - .offset:         12
        .size:           4
        .value_kind:     by_value
      - .offset:         16
        .size:           8
        .value_kind:     by_value
      - .offset:         24
        .size:           8
        .value_kind:     by_value
      - .offset:         32
        .size:           8
        .value_kind:     by_value
      - .offset:         40
        .size:           8
        .value_kind:     by_value
      - .offset:         48
        .size:           8
        .value_kind:     by_value
      - .actual_access:  read_only
        .address_space:  global
        .offset:         56
        .size:           8
        .value_kind:     global_buffer
      - .offset:         64
        .size:           8
        .value_kind:     by_value
      - .actual_access:  read_only
        .address_space:  global
        .offset:         72
        .size:           8
        .value_kind:     global_buffer
      - .offset:         80
        .size:           8
        .value_kind:     by_value
      - .offset:         88
        .size:           8
        .value_kind:     by_value
      - .address_space:  global
        .offset:         96
        .size:           8
        .value_kind:     global_buffer
      - .actual_access:  read_only
        .address_space:  global
        .offset:         104
        .size:           8
        .value_kind:     global_buffer
      - .offset:         112
        .size:           4
        .value_kind:     by_value
      - .offset:         116
        .size:           1
        .value_kind:     by_value
    .group_segment_fixed_size: 2048
    .kernarg_segment_align: 8
    .kernarg_segment_size: 120
    .language:       OpenCL C
    .language_version:
      - 2
      - 0
    .max_flat_workgroup_size: 512
    .name:           _ZN9rocsparseL16sddmm_ell_kernelILi512ELi1EfllfffEEv20rocsparse_operation_S1_16rocsparse_order_S2_T3_S3_S3_T2_NS_24const_host_device_scalarIT1_EEPKT4_lPKT5_lS7_PT6_PKS3_21rocsparse_index_base_b
    .private_segment_fixed_size: 0
    .sgpr_count:     30
    .sgpr_spill_count: 0
    .symbol:         _ZN9rocsparseL16sddmm_ell_kernelILi512ELi1EfllfffEEv20rocsparse_operation_S1_16rocsparse_order_S2_T3_S3_S3_T2_NS_24const_host_device_scalarIT1_EEPKT4_lPKT5_lS7_PT6_PKS3_21rocsparse_index_base_b.kd
    .uniform_work_group_size: 1
    .uses_dynamic_stack: false
    .vgpr_count:     14
    .vgpr_spill_count: 0
    .wavefront_size: 32
  - .args:
      - .offset:         0
        .size:           8
        .value_kind:     by_value
      - .offset:         8
        .size:           8
        .value_kind:     by_value
      - .actual_access:  read_only
        .address_space:  global
        .offset:         16
        .size:           8
        .value_kind:     global_buffer
      - .offset:         24
        .size:           8
        .value_kind:     by_value
      - .offset:         32
        .size:           8
        .value_kind:     by_value
      - .actual_access:  write_only
        .address_space:  global
        .offset:         40
        .size:           8
        .value_kind:     global_buffer
      - .actual_access:  read_only
        .address_space:  global
        .offset:         48
        .size:           8
        .value_kind:     global_buffer
      - .offset:         56
        .size:           4
        .value_kind:     by_value
    .group_segment_fixed_size: 0
    .kernarg_segment_align: 8
    .kernarg_segment_size: 60
    .language:       OpenCL C
    .language_version:
      - 2
      - 0
    .max_flat_workgroup_size: 512
    .name:           _ZN9rocsparseL23sddmm_ell_sample_kernelILi16ELi32EdldEEvT2_S1_PKT3_lS1_PS2_PKS1_21rocsparse_index_base_
    .private_segment_fixed_size: 0
    .sgpr_count:     18
    .sgpr_spill_count: 0
    .symbol:         _ZN9rocsparseL23sddmm_ell_sample_kernelILi16ELi32EdldEEvT2_S1_PKT3_lS1_PS2_PKS1_21rocsparse_index_base_.kd
    .uniform_work_group_size: 1
    .uses_dynamic_stack: false
    .vgpr_count:     12
    .vgpr_spill_count: 0
    .wavefront_size: 32
  - .args:
      - .offset:         0
        .size:           8
        .value_kind:     by_value
      - .offset:         8
        .size:           8
        .value_kind:     by_value
      - .actual_access:  read_only
        .address_space:  global
        .offset:         16
        .size:           8
        .value_kind:     global_buffer
      - .offset:         24
        .size:           8
        .value_kind:     by_value
      - .offset:         32
        .size:           8
        .value_kind:     by_value
      - .actual_access:  write_only
        .address_space:  global
        .offset:         40
        .size:           8
        .value_kind:     global_buffer
      - .actual_access:  read_only
        .address_space:  global
        .offset:         48
        .size:           8
        .value_kind:     global_buffer
      - .offset:         56
        .size:           4
        .value_kind:     by_value
    .group_segment_fixed_size: 0
    .kernarg_segment_align: 8
    .kernarg_segment_size: 60
    .language:       OpenCL C
    .language_version:
      - 2
      - 0
    .max_flat_workgroup_size: 1024
    .name:           _ZN9rocsparseL23sddmm_ell_sample_kernelILi16ELi64EdldEEvT2_S1_PKT3_lS1_PS2_PKS1_21rocsparse_index_base_
    .private_segment_fixed_size: 0
    .sgpr_count:     18
    .sgpr_spill_count: 0
    .symbol:         _ZN9rocsparseL23sddmm_ell_sample_kernelILi16ELi64EdldEEvT2_S1_PKT3_lS1_PS2_PKS1_21rocsparse_index_base_.kd
    .uniform_work_group_size: 1
    .uses_dynamic_stack: false
    .vgpr_count:     12
    .vgpr_spill_count: 0
    .wavefront_size: 32
  - .args:
      - .offset:         0
        .size:           4
        .value_kind:     by_value
      - .offset:         4
        .size:           4
        .value_kind:     by_value
      - .offset:         8
        .size:           4
        .value_kind:     by_value
      - .offset:         12
        .size:           4
        .value_kind:     by_value
      - .offset:         16
        .size:           8
        .value_kind:     by_value
      - .offset:         24
        .size:           8
        .value_kind:     by_value
      - .offset:         32
        .size:           8
        .value_kind:     by_value
      - .offset:         40
        .size:           8
        .value_kind:     by_value
      - .offset:         48
        .size:           8
        .value_kind:     by_value
      - .actual_access:  read_only
        .address_space:  global
        .offset:         56
        .size:           8
        .value_kind:     global_buffer
      - .offset:         64
        .size:           8
        .value_kind:     by_value
      - .actual_access:  read_only
        .address_space:  global
        .offset:         72
        .size:           8
        .value_kind:     global_buffer
      - .offset:         80
        .size:           8
        .value_kind:     by_value
      - .offset:         88
        .size:           8
        .value_kind:     by_value
      - .address_space:  global
        .offset:         96
        .size:           8
        .value_kind:     global_buffer
      - .actual_access:  read_only
        .address_space:  global
        .offset:         104
        .size:           8
        .value_kind:     global_buffer
      - .offset:         112
        .size:           4
        .value_kind:     by_value
      - .offset:         116
        .size:           1
        .value_kind:     by_value
    .group_segment_fixed_size: 4096
    .kernarg_segment_align: 8
    .kernarg_segment_size: 120
    .language:       OpenCL C
    .language_version:
      - 2
      - 0
    .max_flat_workgroup_size: 512
    .name:           _ZN9rocsparseL16sddmm_ell_kernelILi512ELi8EdlldddEEv20rocsparse_operation_S1_16rocsparse_order_S2_T3_S3_S3_T2_NS_24const_host_device_scalarIT1_EEPKT4_lPKT5_lS7_PT6_PKS3_21rocsparse_index_base_b
    .private_segment_fixed_size: 0
    .sgpr_count:     26
    .sgpr_spill_count: 0
    .symbol:         _ZN9rocsparseL16sddmm_ell_kernelILi512ELi8EdlldddEEv20rocsparse_operation_S1_16rocsparse_order_S2_T3_S3_S3_T2_NS_24const_host_device_scalarIT1_EEPKT4_lPKT5_lS7_PT6_PKS3_21rocsparse_index_base_b.kd
    .uniform_work_group_size: 1
    .uses_dynamic_stack: false
    .vgpr_count:     22
    .vgpr_spill_count: 0
    .wavefront_size: 32
  - .args:
      - .offset:         0
        .size:           4
        .value_kind:     by_value
      - .offset:         4
        .size:           4
        .value_kind:     by_value
      - .offset:         8
        .size:           4
        .value_kind:     by_value
      - .offset:         12
        .size:           4
        .value_kind:     by_value
      - .offset:         16
        .size:           8
        .value_kind:     by_value
      - .offset:         24
        .size:           8
        .value_kind:     by_value
      - .offset:         32
        .size:           8
        .value_kind:     by_value
      - .offset:         40
        .size:           8
        .value_kind:     by_value
      - .offset:         48
        .size:           8
        .value_kind:     by_value
      - .actual_access:  read_only
        .address_space:  global
        .offset:         56
        .size:           8
        .value_kind:     global_buffer
      - .offset:         64
        .size:           8
        .value_kind:     by_value
      - .actual_access:  read_only
        .address_space:  global
        .offset:         72
        .size:           8
        .value_kind:     global_buffer
      - .offset:         80
        .size:           8
        .value_kind:     by_value
      - .offset:         88
        .size:           8
        .value_kind:     by_value
      - .address_space:  global
        .offset:         96
        .size:           8
        .value_kind:     global_buffer
      - .actual_access:  read_only
        .address_space:  global
        .offset:         104
        .size:           8
        .value_kind:     global_buffer
      - .offset:         112
        .size:           4
        .value_kind:     by_value
      - .offset:         116
        .size:           1
        .value_kind:     by_value
    .group_segment_fixed_size: 4096
    .kernarg_segment_align: 8
    .kernarg_segment_size: 120
    .language:       OpenCL C
    .language_version:
      - 2
      - 0
    .max_flat_workgroup_size: 512
    .name:           _ZN9rocsparseL16sddmm_ell_kernelILi512ELi4EdlldddEEv20rocsparse_operation_S1_16rocsparse_order_S2_T3_S3_S3_T2_NS_24const_host_device_scalarIT1_EEPKT4_lPKT5_lS7_PT6_PKS3_21rocsparse_index_base_b
    .private_segment_fixed_size: 0
    .sgpr_count:     26
    .sgpr_spill_count: 0
    .symbol:         _ZN9rocsparseL16sddmm_ell_kernelILi512ELi4EdlldddEEv20rocsparse_operation_S1_16rocsparse_order_S2_T3_S3_S3_T2_NS_24const_host_device_scalarIT1_EEPKT4_lPKT5_lS7_PT6_PKS3_21rocsparse_index_base_b.kd
    .uniform_work_group_size: 1
    .uses_dynamic_stack: false
    .vgpr_count:     22
    .vgpr_spill_count: 0
    .wavefront_size: 32
  - .args:
      - .offset:         0
        .size:           4
        .value_kind:     by_value
      - .offset:         4
        .size:           4
        .value_kind:     by_value
      - .offset:         8
        .size:           4
        .value_kind:     by_value
      - .offset:         12
        .size:           4
        .value_kind:     by_value
      - .offset:         16
        .size:           8
        .value_kind:     by_value
      - .offset:         24
        .size:           8
        .value_kind:     by_value
      - .offset:         32
        .size:           8
        .value_kind:     by_value
      - .offset:         40
        .size:           8
        .value_kind:     by_value
      - .offset:         48
        .size:           8
        .value_kind:     by_value
      - .actual_access:  read_only
        .address_space:  global
        .offset:         56
        .size:           8
        .value_kind:     global_buffer
      - .offset:         64
        .size:           8
        .value_kind:     by_value
      - .actual_access:  read_only
        .address_space:  global
        .offset:         72
        .size:           8
        .value_kind:     global_buffer
      - .offset:         80
        .size:           8
        .value_kind:     by_value
      - .offset:         88
        .size:           8
        .value_kind:     by_value
      - .address_space:  global
        .offset:         96
        .size:           8
        .value_kind:     global_buffer
      - .actual_access:  read_only
        .address_space:  global
        .offset:         104
        .size:           8
        .value_kind:     global_buffer
      - .offset:         112
        .size:           4
        .value_kind:     by_value
      - .offset:         116
        .size:           1
        .value_kind:     by_value
    .group_segment_fixed_size: 4096
    .kernarg_segment_align: 8
    .kernarg_segment_size: 120
    .language:       OpenCL C
    .language_version:
      - 2
      - 0
    .max_flat_workgroup_size: 512
    .name:           _ZN9rocsparseL16sddmm_ell_kernelILi512ELi2EdlldddEEv20rocsparse_operation_S1_16rocsparse_order_S2_T3_S3_S3_T2_NS_24const_host_device_scalarIT1_EEPKT4_lPKT5_lS7_PT6_PKS3_21rocsparse_index_base_b
    .private_segment_fixed_size: 0
    .sgpr_count:     26
    .sgpr_spill_count: 0
    .symbol:         _ZN9rocsparseL16sddmm_ell_kernelILi512ELi2EdlldddEEv20rocsparse_operation_S1_16rocsparse_order_S2_T3_S3_S3_T2_NS_24const_host_device_scalarIT1_EEPKT4_lPKT5_lS7_PT6_PKS3_21rocsparse_index_base_b.kd
    .uniform_work_group_size: 1
    .uses_dynamic_stack: false
    .vgpr_count:     22
    .vgpr_spill_count: 0
    .wavefront_size: 32
  - .args:
      - .offset:         0
        .size:           4
        .value_kind:     by_value
      - .offset:         4
        .size:           4
        .value_kind:     by_value
      - .offset:         8
        .size:           4
        .value_kind:     by_value
      - .offset:         12
        .size:           4
        .value_kind:     by_value
      - .offset:         16
        .size:           8
        .value_kind:     by_value
      - .offset:         24
        .size:           8
        .value_kind:     by_value
      - .offset:         32
        .size:           8
        .value_kind:     by_value
      - .offset:         40
        .size:           8
        .value_kind:     by_value
      - .offset:         48
        .size:           8
        .value_kind:     by_value
      - .actual_access:  read_only
        .address_space:  global
        .offset:         56
        .size:           8
        .value_kind:     global_buffer
      - .offset:         64
        .size:           8
        .value_kind:     by_value
      - .actual_access:  read_only
        .address_space:  global
        .offset:         72
        .size:           8
        .value_kind:     global_buffer
      - .offset:         80
        .size:           8
        .value_kind:     by_value
      - .offset:         88
        .size:           8
        .value_kind:     by_value
      - .address_space:  global
        .offset:         96
        .size:           8
        .value_kind:     global_buffer
      - .actual_access:  read_only
        .address_space:  global
        .offset:         104
        .size:           8
        .value_kind:     global_buffer
      - .offset:         112
        .size:           4
        .value_kind:     by_value
      - .offset:         116
        .size:           1
        .value_kind:     by_value
    .group_segment_fixed_size: 4096
    .kernarg_segment_align: 8
    .kernarg_segment_size: 120
    .language:       OpenCL C
    .language_version:
      - 2
      - 0
    .max_flat_workgroup_size: 512
    .name:           _ZN9rocsparseL16sddmm_ell_kernelILi512ELi1EdlldddEEv20rocsparse_operation_S1_16rocsparse_order_S2_T3_S3_S3_T2_NS_24const_host_device_scalarIT1_EEPKT4_lPKT5_lS7_PT6_PKS3_21rocsparse_index_base_b
    .private_segment_fixed_size: 0
    .sgpr_count:     26
    .sgpr_spill_count: 0
    .symbol:         _ZN9rocsparseL16sddmm_ell_kernelILi512ELi1EdlldddEEv20rocsparse_operation_S1_16rocsparse_order_S2_T3_S3_S3_T2_NS_24const_host_device_scalarIT1_EEPKT4_lPKT5_lS7_PT6_PKS3_21rocsparse_index_base_b.kd
    .uniform_work_group_size: 1
    .uses_dynamic_stack: false
    .vgpr_count:     18
    .vgpr_spill_count: 0
    .wavefront_size: 32
  - .args:
      - .offset:         0
        .size:           8
        .value_kind:     by_value
      - .offset:         8
        .size:           8
        .value_kind:     by_value
      - .actual_access:  read_only
        .address_space:  global
        .offset:         16
        .size:           8
        .value_kind:     global_buffer
      - .offset:         24
        .size:           8
        .value_kind:     by_value
      - .offset:         32
        .size:           8
        .value_kind:     by_value
      - .actual_access:  write_only
        .address_space:  global
        .offset:         40
        .size:           8
        .value_kind:     global_buffer
      - .actual_access:  read_only
        .address_space:  global
        .offset:         48
        .size:           8
        .value_kind:     global_buffer
      - .offset:         56
        .size:           4
        .value_kind:     by_value
    .group_segment_fixed_size: 0
    .kernarg_segment_align: 8
    .kernarg_segment_size: 60
    .language:       OpenCL C
    .language_version:
      - 2
      - 0
    .max_flat_workgroup_size: 512
    .name:           _ZN9rocsparseL23sddmm_ell_sample_kernelILi16ELi32E21rocsparse_complex_numIfElS2_EEvT2_S3_PKT3_lS3_PS4_PKS3_21rocsparse_index_base_
    .private_segment_fixed_size: 0
    .sgpr_count:     18
    .sgpr_spill_count: 0
    .symbol:         _ZN9rocsparseL23sddmm_ell_sample_kernelILi16ELi32E21rocsparse_complex_numIfElS2_EEvT2_S3_PKT3_lS3_PS4_PKS3_21rocsparse_index_base_.kd
    .uniform_work_group_size: 1
    .uses_dynamic_stack: false
    .vgpr_count:     12
    .vgpr_spill_count: 0
    .wavefront_size: 32
  - .args:
      - .offset:         0
        .size:           8
        .value_kind:     by_value
      - .offset:         8
        .size:           8
        .value_kind:     by_value
      - .actual_access:  read_only
        .address_space:  global
        .offset:         16
        .size:           8
        .value_kind:     global_buffer
      - .offset:         24
        .size:           8
        .value_kind:     by_value
      - .offset:         32
        .size:           8
        .value_kind:     by_value
      - .actual_access:  write_only
        .address_space:  global
        .offset:         40
        .size:           8
        .value_kind:     global_buffer
      - .actual_access:  read_only
        .address_space:  global
        .offset:         48
        .size:           8
        .value_kind:     global_buffer
      - .offset:         56
        .size:           4
        .value_kind:     by_value
    .group_segment_fixed_size: 0
    .kernarg_segment_align: 8
    .kernarg_segment_size: 60
    .language:       OpenCL C
    .language_version:
      - 2
      - 0
    .max_flat_workgroup_size: 1024
    .name:           _ZN9rocsparseL23sddmm_ell_sample_kernelILi16ELi64E21rocsparse_complex_numIfElS2_EEvT2_S3_PKT3_lS3_PS4_PKS3_21rocsparse_index_base_
    .private_segment_fixed_size: 0
    .sgpr_count:     18
    .sgpr_spill_count: 0
    .symbol:         _ZN9rocsparseL23sddmm_ell_sample_kernelILi16ELi64E21rocsparse_complex_numIfElS2_EEvT2_S3_PKT3_lS3_PS4_PKS3_21rocsparse_index_base_.kd
    .uniform_work_group_size: 1
    .uses_dynamic_stack: false
    .vgpr_count:     12
    .vgpr_spill_count: 0
    .wavefront_size: 32
  - .args:
      - .offset:         0
        .size:           4
        .value_kind:     by_value
      - .offset:         4
        .size:           4
        .value_kind:     by_value
      - .offset:         8
        .size:           4
        .value_kind:     by_value
      - .offset:         12
        .size:           4
        .value_kind:     by_value
      - .offset:         16
        .size:           8
        .value_kind:     by_value
      - .offset:         24
        .size:           8
        .value_kind:     by_value
      - .offset:         32
        .size:           8
        .value_kind:     by_value
      - .offset:         40
        .size:           8
        .value_kind:     by_value
      - .offset:         48
        .size:           8
        .value_kind:     by_value
      - .actual_access:  read_only
        .address_space:  global
        .offset:         56
        .size:           8
        .value_kind:     global_buffer
      - .offset:         64
        .size:           8
        .value_kind:     by_value
      - .actual_access:  read_only
        .address_space:  global
        .offset:         72
        .size:           8
        .value_kind:     global_buffer
      - .offset:         80
        .size:           8
        .value_kind:     by_value
      - .offset:         88
        .size:           8
        .value_kind:     by_value
      - .address_space:  global
        .offset:         96
        .size:           8
        .value_kind:     global_buffer
      - .actual_access:  read_only
        .address_space:  global
        .offset:         104
        .size:           8
        .value_kind:     global_buffer
      - .offset:         112
        .size:           4
        .value_kind:     by_value
      - .offset:         116
        .size:           1
        .value_kind:     by_value
    .group_segment_fixed_size: 4096
    .kernarg_segment_align: 8
    .kernarg_segment_size: 120
    .language:       OpenCL C
    .language_version:
      - 2
      - 0
    .max_flat_workgroup_size: 512
    .name:           _ZN9rocsparseL16sddmm_ell_kernelILi512ELi8E21rocsparse_complex_numIfEllS2_S2_S2_EEv20rocsparse_operation_S3_16rocsparse_order_S4_T3_S5_S5_T2_NS_24const_host_device_scalarIT1_EEPKT4_lPKT5_lS9_PT6_PKS5_21rocsparse_index_base_b
    .private_segment_fixed_size: 0
    .sgpr_count:     26
    .sgpr_spill_count: 0
    .symbol:         _ZN9rocsparseL16sddmm_ell_kernelILi512ELi8E21rocsparse_complex_numIfEllS2_S2_S2_EEv20rocsparse_operation_S3_16rocsparse_order_S4_T3_S5_S5_T2_NS_24const_host_device_scalarIT1_EEPKT4_lPKT5_lS9_PT6_PKS5_21rocsparse_index_base_b.kd
    .uniform_work_group_size: 1
    .uses_dynamic_stack: false
    .vgpr_count:     24
    .vgpr_spill_count: 0
    .wavefront_size: 32
  - .args:
      - .offset:         0
        .size:           4
        .value_kind:     by_value
      - .offset:         4
        .size:           4
        .value_kind:     by_value
      - .offset:         8
        .size:           4
        .value_kind:     by_value
      - .offset:         12
        .size:           4
        .value_kind:     by_value
      - .offset:         16
        .size:           8
        .value_kind:     by_value
      - .offset:         24
        .size:           8
        .value_kind:     by_value
      - .offset:         32
        .size:           8
        .value_kind:     by_value
      - .offset:         40
        .size:           8
        .value_kind:     by_value
      - .offset:         48
        .size:           8
        .value_kind:     by_value
      - .actual_access:  read_only
        .address_space:  global
        .offset:         56
        .size:           8
        .value_kind:     global_buffer
      - .offset:         64
        .size:           8
        .value_kind:     by_value
      - .actual_access:  read_only
        .address_space:  global
        .offset:         72
        .size:           8
        .value_kind:     global_buffer
      - .offset:         80
        .size:           8
        .value_kind:     by_value
      - .offset:         88
        .size:           8
        .value_kind:     by_value
      - .address_space:  global
        .offset:         96
        .size:           8
        .value_kind:     global_buffer
      - .actual_access:  read_only
        .address_space:  global
        .offset:         104
        .size:           8
        .value_kind:     global_buffer
      - .offset:         112
        .size:           4
        .value_kind:     by_value
      - .offset:         116
        .size:           1
        .value_kind:     by_value
    .group_segment_fixed_size: 4096
    .kernarg_segment_align: 8
    .kernarg_segment_size: 120
    .language:       OpenCL C
    .language_version:
      - 2
      - 0
    .max_flat_workgroup_size: 512
    .name:           _ZN9rocsparseL16sddmm_ell_kernelILi512ELi4E21rocsparse_complex_numIfEllS2_S2_S2_EEv20rocsparse_operation_S3_16rocsparse_order_S4_T3_S5_S5_T2_NS_24const_host_device_scalarIT1_EEPKT4_lPKT5_lS9_PT6_PKS5_21rocsparse_index_base_b
    .private_segment_fixed_size: 0
    .sgpr_count:     26
    .sgpr_spill_count: 0
    .symbol:         _ZN9rocsparseL16sddmm_ell_kernelILi512ELi4E21rocsparse_complex_numIfEllS2_S2_S2_EEv20rocsparse_operation_S3_16rocsparse_order_S4_T3_S5_S5_T2_NS_24const_host_device_scalarIT1_EEPKT4_lPKT5_lS9_PT6_PKS5_21rocsparse_index_base_b.kd
    .uniform_work_group_size: 1
    .uses_dynamic_stack: false
    .vgpr_count:     24
    .vgpr_spill_count: 0
    .wavefront_size: 32
  - .args:
      - .offset:         0
        .size:           4
        .value_kind:     by_value
      - .offset:         4
        .size:           4
        .value_kind:     by_value
      - .offset:         8
        .size:           4
        .value_kind:     by_value
      - .offset:         12
        .size:           4
        .value_kind:     by_value
      - .offset:         16
        .size:           8
        .value_kind:     by_value
      - .offset:         24
        .size:           8
        .value_kind:     by_value
      - .offset:         32
        .size:           8
        .value_kind:     by_value
      - .offset:         40
        .size:           8
        .value_kind:     by_value
      - .offset:         48
        .size:           8
        .value_kind:     by_value
      - .actual_access:  read_only
        .address_space:  global
        .offset:         56
        .size:           8
        .value_kind:     global_buffer
      - .offset:         64
        .size:           8
        .value_kind:     by_value
      - .actual_access:  read_only
        .address_space:  global
        .offset:         72
        .size:           8
        .value_kind:     global_buffer
      - .offset:         80
        .size:           8
        .value_kind:     by_value
      - .offset:         88
        .size:           8
        .value_kind:     by_value
      - .address_space:  global
        .offset:         96
        .size:           8
        .value_kind:     global_buffer
      - .actual_access:  read_only
        .address_space:  global
        .offset:         104
        .size:           8
        .value_kind:     global_buffer
      - .offset:         112
        .size:           4
        .value_kind:     by_value
      - .offset:         116
        .size:           1
        .value_kind:     by_value
    .group_segment_fixed_size: 4096
    .kernarg_segment_align: 8
    .kernarg_segment_size: 120
    .language:       OpenCL C
    .language_version:
      - 2
      - 0
    .max_flat_workgroup_size: 512
    .name:           _ZN9rocsparseL16sddmm_ell_kernelILi512ELi2E21rocsparse_complex_numIfEllS2_S2_S2_EEv20rocsparse_operation_S3_16rocsparse_order_S4_T3_S5_S5_T2_NS_24const_host_device_scalarIT1_EEPKT4_lPKT5_lS9_PT6_PKS5_21rocsparse_index_base_b
    .private_segment_fixed_size: 0
    .sgpr_count:     26
    .sgpr_spill_count: 0
    .symbol:         _ZN9rocsparseL16sddmm_ell_kernelILi512ELi2E21rocsparse_complex_numIfEllS2_S2_S2_EEv20rocsparse_operation_S3_16rocsparse_order_S4_T3_S5_S5_T2_NS_24const_host_device_scalarIT1_EEPKT4_lPKT5_lS9_PT6_PKS5_21rocsparse_index_base_b.kd
    .uniform_work_group_size: 1
    .uses_dynamic_stack: false
    .vgpr_count:     24
    .vgpr_spill_count: 0
    .wavefront_size: 32
  - .args:
      - .offset:         0
        .size:           4
        .value_kind:     by_value
      - .offset:         4
        .size:           4
        .value_kind:     by_value
      - .offset:         8
        .size:           4
        .value_kind:     by_value
      - .offset:         12
        .size:           4
        .value_kind:     by_value
      - .offset:         16
        .size:           8
        .value_kind:     by_value
      - .offset:         24
        .size:           8
        .value_kind:     by_value
      - .offset:         32
        .size:           8
        .value_kind:     by_value
      - .offset:         40
        .size:           8
        .value_kind:     by_value
      - .offset:         48
        .size:           8
        .value_kind:     by_value
      - .actual_access:  read_only
        .address_space:  global
        .offset:         56
        .size:           8
        .value_kind:     global_buffer
      - .offset:         64
        .size:           8
        .value_kind:     by_value
      - .actual_access:  read_only
        .address_space:  global
        .offset:         72
        .size:           8
        .value_kind:     global_buffer
      - .offset:         80
        .size:           8
        .value_kind:     by_value
      - .offset:         88
        .size:           8
        .value_kind:     by_value
      - .address_space:  global
        .offset:         96
        .size:           8
        .value_kind:     global_buffer
      - .actual_access:  read_only
        .address_space:  global
        .offset:         104
        .size:           8
        .value_kind:     global_buffer
      - .offset:         112
        .size:           4
        .value_kind:     by_value
      - .offset:         116
        .size:           1
        .value_kind:     by_value
    .group_segment_fixed_size: 4096
    .kernarg_segment_align: 8
    .kernarg_segment_size: 120
    .language:       OpenCL C
    .language_version:
      - 2
      - 0
    .max_flat_workgroup_size: 512
    .name:           _ZN9rocsparseL16sddmm_ell_kernelILi512ELi1E21rocsparse_complex_numIfEllS2_S2_S2_EEv20rocsparse_operation_S3_16rocsparse_order_S4_T3_S5_S5_T2_NS_24const_host_device_scalarIT1_EEPKT4_lPKT5_lS9_PT6_PKS5_21rocsparse_index_base_b
    .private_segment_fixed_size: 0
    .sgpr_count:     26
    .sgpr_spill_count: 0
    .symbol:         _ZN9rocsparseL16sddmm_ell_kernelILi512ELi1E21rocsparse_complex_numIfEllS2_S2_S2_EEv20rocsparse_operation_S3_16rocsparse_order_S4_T3_S5_S5_T2_NS_24const_host_device_scalarIT1_EEPKT4_lPKT5_lS9_PT6_PKS5_21rocsparse_index_base_b.kd
    .uniform_work_group_size: 1
    .uses_dynamic_stack: false
    .vgpr_count:     20
    .vgpr_spill_count: 0
    .wavefront_size: 32
  - .args:
      - .offset:         0
        .size:           8
        .value_kind:     by_value
      - .offset:         8
        .size:           8
        .value_kind:     by_value
      - .actual_access:  read_only
        .address_space:  global
        .offset:         16
        .size:           8
        .value_kind:     global_buffer
      - .offset:         24
        .size:           8
        .value_kind:     by_value
      - .offset:         32
        .size:           8
        .value_kind:     by_value
      - .actual_access:  write_only
        .address_space:  global
        .offset:         40
        .size:           8
        .value_kind:     global_buffer
      - .actual_access:  read_only
        .address_space:  global
        .offset:         48
        .size:           8
        .value_kind:     global_buffer
      - .offset:         56
        .size:           4
        .value_kind:     by_value
    .group_segment_fixed_size: 0
    .kernarg_segment_align: 8
    .kernarg_segment_size: 60
    .language:       OpenCL C
    .language_version:
      - 2
      - 0
    .max_flat_workgroup_size: 512
    .name:           _ZN9rocsparseL23sddmm_ell_sample_kernelILi16ELi32E21rocsparse_complex_numIdElS2_EEvT2_S3_PKT3_lS3_PS4_PKS3_21rocsparse_index_base_
    .private_segment_fixed_size: 0
    .sgpr_count:     18
    .sgpr_spill_count: 0
    .symbol:         _ZN9rocsparseL23sddmm_ell_sample_kernelILi16ELi32E21rocsparse_complex_numIdElS2_EEvT2_S3_PKT3_lS3_PS4_PKS3_21rocsparse_index_base_.kd
    .uniform_work_group_size: 1
    .uses_dynamic_stack: false
    .vgpr_count:     12
    .vgpr_spill_count: 0
    .wavefront_size: 32
  - .args:
      - .offset:         0
        .size:           8
        .value_kind:     by_value
      - .offset:         8
        .size:           8
        .value_kind:     by_value
      - .actual_access:  read_only
        .address_space:  global
        .offset:         16
        .size:           8
        .value_kind:     global_buffer
      - .offset:         24
        .size:           8
        .value_kind:     by_value
      - .offset:         32
        .size:           8
        .value_kind:     by_value
      - .actual_access:  write_only
        .address_space:  global
        .offset:         40
        .size:           8
        .value_kind:     global_buffer
      - .actual_access:  read_only
        .address_space:  global
        .offset:         48
        .size:           8
        .value_kind:     global_buffer
      - .offset:         56
        .size:           4
        .value_kind:     by_value
    .group_segment_fixed_size: 0
    .kernarg_segment_align: 8
    .kernarg_segment_size: 60
    .language:       OpenCL C
    .language_version:
      - 2
      - 0
    .max_flat_workgroup_size: 1024
    .name:           _ZN9rocsparseL23sddmm_ell_sample_kernelILi16ELi64E21rocsparse_complex_numIdElS2_EEvT2_S3_PKT3_lS3_PS4_PKS3_21rocsparse_index_base_
    .private_segment_fixed_size: 0
    .sgpr_count:     18
    .sgpr_spill_count: 0
    .symbol:         _ZN9rocsparseL23sddmm_ell_sample_kernelILi16ELi64E21rocsparse_complex_numIdElS2_EEvT2_S3_PKT3_lS3_PS4_PKS3_21rocsparse_index_base_.kd
    .uniform_work_group_size: 1
    .uses_dynamic_stack: false
    .vgpr_count:     12
    .vgpr_spill_count: 0
    .wavefront_size: 32
  - .args:
      - .offset:         0
        .size:           4
        .value_kind:     by_value
      - .offset:         4
        .size:           4
        .value_kind:     by_value
      - .offset:         8
        .size:           4
        .value_kind:     by_value
      - .offset:         12
        .size:           4
        .value_kind:     by_value
      - .offset:         16
        .size:           8
        .value_kind:     by_value
      - .offset:         24
        .size:           8
        .value_kind:     by_value
      - .offset:         32
        .size:           8
        .value_kind:     by_value
      - .offset:         40
        .size:           8
        .value_kind:     by_value
      - .offset:         48
        .size:           16
        .value_kind:     by_value
      - .actual_access:  read_only
        .address_space:  global
        .offset:         64
        .size:           8
        .value_kind:     global_buffer
      - .offset:         72
        .size:           8
        .value_kind:     by_value
      - .actual_access:  read_only
        .address_space:  global
        .offset:         80
        .size:           8
        .value_kind:     global_buffer
      - .offset:         88
        .size:           8
        .value_kind:     by_value
      - .offset:         96
        .size:           16
        .value_kind:     by_value
      - .address_space:  global
        .offset:         112
        .size:           8
        .value_kind:     global_buffer
      - .actual_access:  read_only
        .address_space:  global
        .offset:         120
        .size:           8
        .value_kind:     global_buffer
      - .offset:         128
        .size:           4
        .value_kind:     by_value
      - .offset:         132
        .size:           1
        .value_kind:     by_value
    .group_segment_fixed_size: 8192
    .kernarg_segment_align: 8
    .kernarg_segment_size: 136
    .language:       OpenCL C
    .language_version:
      - 2
      - 0
    .max_flat_workgroup_size: 512
    .name:           _ZN9rocsparseL16sddmm_ell_kernelILi512ELi8E21rocsparse_complex_numIdEllS2_S2_S2_EEv20rocsparse_operation_S3_16rocsparse_order_S4_T3_S5_S5_T2_NS_24const_host_device_scalarIT1_EEPKT4_lPKT5_lS9_PT6_PKS5_21rocsparse_index_base_b
    .private_segment_fixed_size: 0
    .sgpr_count:     26
    .sgpr_spill_count: 0
    .symbol:         _ZN9rocsparseL16sddmm_ell_kernelILi512ELi8E21rocsparse_complex_numIdEllS2_S2_S2_EEv20rocsparse_operation_S3_16rocsparse_order_S4_T3_S5_S5_T2_NS_24const_host_device_scalarIT1_EEPKT4_lPKT5_lS9_PT6_PKS5_21rocsparse_index_base_b.kd
    .uniform_work_group_size: 1
    .uses_dynamic_stack: false
    .vgpr_count:     34
    .vgpr_spill_count: 0
    .wavefront_size: 32
  - .args:
      - .offset:         0
        .size:           4
        .value_kind:     by_value
      - .offset:         4
        .size:           4
        .value_kind:     by_value
      - .offset:         8
        .size:           4
        .value_kind:     by_value
      - .offset:         12
        .size:           4
        .value_kind:     by_value
      - .offset:         16
        .size:           8
        .value_kind:     by_value
      - .offset:         24
        .size:           8
        .value_kind:     by_value
      - .offset:         32
        .size:           8
        .value_kind:     by_value
      - .offset:         40
        .size:           8
        .value_kind:     by_value
      - .offset:         48
        .size:           16
        .value_kind:     by_value
      - .actual_access:  read_only
        .address_space:  global
        .offset:         64
        .size:           8
        .value_kind:     global_buffer
      - .offset:         72
        .size:           8
        .value_kind:     by_value
      - .actual_access:  read_only
        .address_space:  global
        .offset:         80
        .size:           8
        .value_kind:     global_buffer
      - .offset:         88
        .size:           8
        .value_kind:     by_value
      - .offset:         96
        .size:           16
        .value_kind:     by_value
      - .address_space:  global
        .offset:         112
        .size:           8
        .value_kind:     global_buffer
      - .actual_access:  read_only
        .address_space:  global
        .offset:         120
        .size:           8
        .value_kind:     global_buffer
      - .offset:         128
        .size:           4
        .value_kind:     by_value
      - .offset:         132
        .size:           1
        .value_kind:     by_value
    .group_segment_fixed_size: 8192
    .kernarg_segment_align: 8
    .kernarg_segment_size: 136
    .language:       OpenCL C
    .language_version:
      - 2
      - 0
    .max_flat_workgroup_size: 512
    .name:           _ZN9rocsparseL16sddmm_ell_kernelILi512ELi4E21rocsparse_complex_numIdEllS2_S2_S2_EEv20rocsparse_operation_S3_16rocsparse_order_S4_T3_S5_S5_T2_NS_24const_host_device_scalarIT1_EEPKT4_lPKT5_lS9_PT6_PKS5_21rocsparse_index_base_b
    .private_segment_fixed_size: 0
    .sgpr_count:     26
    .sgpr_spill_count: 0
    .symbol:         _ZN9rocsparseL16sddmm_ell_kernelILi512ELi4E21rocsparse_complex_numIdEllS2_S2_S2_EEv20rocsparse_operation_S3_16rocsparse_order_S4_T3_S5_S5_T2_NS_24const_host_device_scalarIT1_EEPKT4_lPKT5_lS9_PT6_PKS5_21rocsparse_index_base_b.kd
    .uniform_work_group_size: 1
    .uses_dynamic_stack: false
    .vgpr_count:     34
    .vgpr_spill_count: 0
    .wavefront_size: 32
  - .args:
      - .offset:         0
        .size:           4
        .value_kind:     by_value
      - .offset:         4
        .size:           4
        .value_kind:     by_value
      - .offset:         8
        .size:           4
        .value_kind:     by_value
      - .offset:         12
        .size:           4
        .value_kind:     by_value
      - .offset:         16
        .size:           8
        .value_kind:     by_value
      - .offset:         24
        .size:           8
        .value_kind:     by_value
      - .offset:         32
        .size:           8
        .value_kind:     by_value
      - .offset:         40
        .size:           8
        .value_kind:     by_value
      - .offset:         48
        .size:           16
        .value_kind:     by_value
      - .actual_access:  read_only
        .address_space:  global
        .offset:         64
        .size:           8
        .value_kind:     global_buffer
      - .offset:         72
        .size:           8
        .value_kind:     by_value
      - .actual_access:  read_only
        .address_space:  global
        .offset:         80
        .size:           8
        .value_kind:     global_buffer
      - .offset:         88
        .size:           8
        .value_kind:     by_value
      - .offset:         96
        .size:           16
        .value_kind:     by_value
      - .address_space:  global
        .offset:         112
        .size:           8
        .value_kind:     global_buffer
      - .actual_access:  read_only
        .address_space:  global
        .offset:         120
        .size:           8
        .value_kind:     global_buffer
      - .offset:         128
        .size:           4
        .value_kind:     by_value
      - .offset:         132
        .size:           1
        .value_kind:     by_value
    .group_segment_fixed_size: 8192
    .kernarg_segment_align: 8
    .kernarg_segment_size: 136
    .language:       OpenCL C
    .language_version:
      - 2
      - 0
    .max_flat_workgroup_size: 512
    .name:           _ZN9rocsparseL16sddmm_ell_kernelILi512ELi2E21rocsparse_complex_numIdEllS2_S2_S2_EEv20rocsparse_operation_S3_16rocsparse_order_S4_T3_S5_S5_T2_NS_24const_host_device_scalarIT1_EEPKT4_lPKT5_lS9_PT6_PKS5_21rocsparse_index_base_b
    .private_segment_fixed_size: 0
    .sgpr_count:     26
    .sgpr_spill_count: 0
    .symbol:         _ZN9rocsparseL16sddmm_ell_kernelILi512ELi2E21rocsparse_complex_numIdEllS2_S2_S2_EEv20rocsparse_operation_S3_16rocsparse_order_S4_T3_S5_S5_T2_NS_24const_host_device_scalarIT1_EEPKT4_lPKT5_lS9_PT6_PKS5_21rocsparse_index_base_b.kd
    .uniform_work_group_size: 1
    .uses_dynamic_stack: false
    .vgpr_count:     34
    .vgpr_spill_count: 0
    .wavefront_size: 32
  - .args:
      - .offset:         0
        .size:           4
        .value_kind:     by_value
      - .offset:         4
        .size:           4
        .value_kind:     by_value
      - .offset:         8
        .size:           4
        .value_kind:     by_value
      - .offset:         12
        .size:           4
        .value_kind:     by_value
      - .offset:         16
        .size:           8
        .value_kind:     by_value
      - .offset:         24
        .size:           8
        .value_kind:     by_value
      - .offset:         32
        .size:           8
        .value_kind:     by_value
      - .offset:         40
        .size:           8
        .value_kind:     by_value
      - .offset:         48
        .size:           16
        .value_kind:     by_value
      - .actual_access:  read_only
        .address_space:  global
        .offset:         64
        .size:           8
        .value_kind:     global_buffer
      - .offset:         72
        .size:           8
        .value_kind:     by_value
      - .actual_access:  read_only
        .address_space:  global
        .offset:         80
        .size:           8
        .value_kind:     global_buffer
      - .offset:         88
        .size:           8
        .value_kind:     by_value
      - .offset:         96
        .size:           16
        .value_kind:     by_value
      - .address_space:  global
        .offset:         112
        .size:           8
        .value_kind:     global_buffer
      - .actual_access:  read_only
        .address_space:  global
        .offset:         120
        .size:           8
        .value_kind:     global_buffer
      - .offset:         128
        .size:           4
        .value_kind:     by_value
      - .offset:         132
        .size:           1
        .value_kind:     by_value
    .group_segment_fixed_size: 8192
    .kernarg_segment_align: 8
    .kernarg_segment_size: 136
    .language:       OpenCL C
    .language_version:
      - 2
      - 0
    .max_flat_workgroup_size: 512
    .name:           _ZN9rocsparseL16sddmm_ell_kernelILi512ELi1E21rocsparse_complex_numIdEllS2_S2_S2_EEv20rocsparse_operation_S3_16rocsparse_order_S4_T3_S5_S5_T2_NS_24const_host_device_scalarIT1_EEPKT4_lPKT5_lS9_PT6_PKS5_21rocsparse_index_base_b
    .private_segment_fixed_size: 0
    .sgpr_count:     26
    .sgpr_spill_count: 0
    .symbol:         _ZN9rocsparseL16sddmm_ell_kernelILi512ELi1E21rocsparse_complex_numIdEllS2_S2_S2_EEv20rocsparse_operation_S3_16rocsparse_order_S4_T3_S5_S5_T2_NS_24const_host_device_scalarIT1_EEPKT4_lPKT5_lS9_PT6_PKS5_21rocsparse_index_base_b.kd
    .uniform_work_group_size: 1
    .uses_dynamic_stack: false
    .vgpr_count:     30
    .vgpr_spill_count: 0
    .wavefront_size: 32
  - .args:
      - .offset:         0
        .size:           4
        .value_kind:     by_value
      - .offset:         4
        .size:           4
        .value_kind:     by_value
      - .offset:         8
        .size:           4
        .value_kind:     by_value
      - .offset:         12
        .size:           4
        .value_kind:     by_value
      - .offset:         16
        .size:           4
        .value_kind:     by_value
      - .offset:         20
        .size:           4
        .value_kind:     by_value
      - .offset:         24
        .size:           4
        .value_kind:     by_value
      - .offset:         28
        .size:           4
        .value_kind:     by_value
      - .offset:         32
        .size:           8
        .value_kind:     by_value
      - .actual_access:  read_only
        .address_space:  global
        .offset:         40
        .size:           8
        .value_kind:     global_buffer
      - .offset:         48
        .size:           8
        .value_kind:     by_value
      - .actual_access:  read_only
        .address_space:  global
        .offset:         56
        .size:           8
        .value_kind:     global_buffer
      - .offset:         64
        .size:           8
        .value_kind:     by_value
      - .offset:         72
        .size:           8
        .value_kind:     by_value
      - .address_space:  global
        .offset:         80
        .size:           8
        .value_kind:     global_buffer
      - .actual_access:  read_only
        .address_space:  global
        .offset:         88
        .size:           8
        .value_kind:     global_buffer
      - .offset:         96
        .size:           4
        .value_kind:     by_value
      - .offset:         100
        .size:           1
        .value_kind:     by_value
    .group_segment_fixed_size: 2048
    .kernarg_segment_align: 8
    .kernarg_segment_size: 104
    .language:       OpenCL C
    .language_version:
      - 2
      - 0
    .max_flat_workgroup_size: 512
    .name:           _ZN9rocsparseL16sddmm_ell_kernelILi512ELi8EfiiDF16_DF16_fEEv20rocsparse_operation_S1_16rocsparse_order_S2_T3_S3_S3_T2_NS_24const_host_device_scalarIT1_EEPKT4_lPKT5_lS7_PT6_PKS3_21rocsparse_index_base_b
    .private_segment_fixed_size: 0
    .sgpr_count:     20
    .sgpr_spill_count: 0
    .symbol:         _ZN9rocsparseL16sddmm_ell_kernelILi512ELi8EfiiDF16_DF16_fEEv20rocsparse_operation_S1_16rocsparse_order_S2_T3_S3_S3_T2_NS_24const_host_device_scalarIT1_EEPKT4_lPKT5_lS7_PT6_PKS3_21rocsparse_index_base_b.kd
    .uniform_work_group_size: 1
    .uses_dynamic_stack: false
    .vgpr_count:     14
    .vgpr_spill_count: 0
    .wavefront_size: 32
  - .args:
      - .offset:         0
        .size:           4
        .value_kind:     by_value
      - .offset:         4
        .size:           4
        .value_kind:     by_value
      - .offset:         8
        .size:           4
        .value_kind:     by_value
      - .offset:         12
        .size:           4
        .value_kind:     by_value
      - .offset:         16
        .size:           4
        .value_kind:     by_value
      - .offset:         20
        .size:           4
        .value_kind:     by_value
      - .offset:         24
        .size:           4
        .value_kind:     by_value
      - .offset:         28
        .size:           4
        .value_kind:     by_value
      - .offset:         32
        .size:           8
        .value_kind:     by_value
      - .actual_access:  read_only
        .address_space:  global
        .offset:         40
        .size:           8
        .value_kind:     global_buffer
      - .offset:         48
        .size:           8
        .value_kind:     by_value
      - .actual_access:  read_only
        .address_space:  global
        .offset:         56
        .size:           8
        .value_kind:     global_buffer
      - .offset:         64
        .size:           8
        .value_kind:     by_value
      - .offset:         72
        .size:           8
        .value_kind:     by_value
      - .address_space:  global
        .offset:         80
        .size:           8
        .value_kind:     global_buffer
      - .actual_access:  read_only
        .address_space:  global
        .offset:         88
        .size:           8
        .value_kind:     global_buffer
      - .offset:         96
        .size:           4
        .value_kind:     by_value
      - .offset:         100
        .size:           1
        .value_kind:     by_value
    .group_segment_fixed_size: 2048
    .kernarg_segment_align: 8
    .kernarg_segment_size: 104
    .language:       OpenCL C
    .language_version:
      - 2
      - 0
    .max_flat_workgroup_size: 512
    .name:           _ZN9rocsparseL16sddmm_ell_kernelILi512ELi4EfiiDF16_DF16_fEEv20rocsparse_operation_S1_16rocsparse_order_S2_T3_S3_S3_T2_NS_24const_host_device_scalarIT1_EEPKT4_lPKT5_lS7_PT6_PKS3_21rocsparse_index_base_b
    .private_segment_fixed_size: 0
    .sgpr_count:     20
    .sgpr_spill_count: 0
    .symbol:         _ZN9rocsparseL16sddmm_ell_kernelILi512ELi4EfiiDF16_DF16_fEEv20rocsparse_operation_S1_16rocsparse_order_S2_T3_S3_S3_T2_NS_24const_host_device_scalarIT1_EEPKT4_lPKT5_lS7_PT6_PKS3_21rocsparse_index_base_b.kd
    .uniform_work_group_size: 1
    .uses_dynamic_stack: false
    .vgpr_count:     14
    .vgpr_spill_count: 0
    .wavefront_size: 32
  - .args:
      - .offset:         0
        .size:           4
        .value_kind:     by_value
      - .offset:         4
        .size:           4
        .value_kind:     by_value
      - .offset:         8
        .size:           4
        .value_kind:     by_value
      - .offset:         12
        .size:           4
        .value_kind:     by_value
      - .offset:         16
        .size:           4
        .value_kind:     by_value
      - .offset:         20
        .size:           4
        .value_kind:     by_value
      - .offset:         24
        .size:           4
        .value_kind:     by_value
      - .offset:         28
        .size:           4
        .value_kind:     by_value
      - .offset:         32
        .size:           8
        .value_kind:     by_value
      - .actual_access:  read_only
        .address_space:  global
        .offset:         40
        .size:           8
        .value_kind:     global_buffer
      - .offset:         48
        .size:           8
        .value_kind:     by_value
      - .actual_access:  read_only
        .address_space:  global
        .offset:         56
        .size:           8
        .value_kind:     global_buffer
      - .offset:         64
        .size:           8
        .value_kind:     by_value
      - .offset:         72
        .size:           8
        .value_kind:     by_value
      - .address_space:  global
        .offset:         80
        .size:           8
        .value_kind:     global_buffer
      - .actual_access:  read_only
        .address_space:  global
        .offset:         88
        .size:           8
        .value_kind:     global_buffer
      - .offset:         96
        .size:           4
        .value_kind:     by_value
      - .offset:         100
        .size:           1
        .value_kind:     by_value
    .group_segment_fixed_size: 2048
    .kernarg_segment_align: 8
    .kernarg_segment_size: 104
    .language:       OpenCL C
    .language_version:
      - 2
      - 0
    .max_flat_workgroup_size: 512
    .name:           _ZN9rocsparseL16sddmm_ell_kernelILi512ELi2EfiiDF16_DF16_fEEv20rocsparse_operation_S1_16rocsparse_order_S2_T3_S3_S3_T2_NS_24const_host_device_scalarIT1_EEPKT4_lPKT5_lS7_PT6_PKS3_21rocsparse_index_base_b
    .private_segment_fixed_size: 0
    .sgpr_count:     20
    .sgpr_spill_count: 0
    .symbol:         _ZN9rocsparseL16sddmm_ell_kernelILi512ELi2EfiiDF16_DF16_fEEv20rocsparse_operation_S1_16rocsparse_order_S2_T3_S3_S3_T2_NS_24const_host_device_scalarIT1_EEPKT4_lPKT5_lS7_PT6_PKS3_21rocsparse_index_base_b.kd
    .uniform_work_group_size: 1
    .uses_dynamic_stack: false
    .vgpr_count:     14
    .vgpr_spill_count: 0
    .wavefront_size: 32
  - .args:
      - .offset:         0
        .size:           4
        .value_kind:     by_value
      - .offset:         4
        .size:           4
        .value_kind:     by_value
      - .offset:         8
        .size:           4
        .value_kind:     by_value
      - .offset:         12
        .size:           4
        .value_kind:     by_value
      - .offset:         16
        .size:           4
        .value_kind:     by_value
      - .offset:         20
        .size:           4
        .value_kind:     by_value
      - .offset:         24
        .size:           4
        .value_kind:     by_value
      - .offset:         28
        .size:           4
        .value_kind:     by_value
      - .offset:         32
        .size:           8
        .value_kind:     by_value
      - .actual_access:  read_only
        .address_space:  global
        .offset:         40
        .size:           8
        .value_kind:     global_buffer
      - .offset:         48
        .size:           8
        .value_kind:     by_value
      - .actual_access:  read_only
        .address_space:  global
        .offset:         56
        .size:           8
        .value_kind:     global_buffer
      - .offset:         64
        .size:           8
        .value_kind:     by_value
      - .offset:         72
        .size:           8
        .value_kind:     by_value
      - .address_space:  global
        .offset:         80
        .size:           8
        .value_kind:     global_buffer
      - .actual_access:  read_only
        .address_space:  global
        .offset:         88
        .size:           8
        .value_kind:     global_buffer
      - .offset:         96
        .size:           4
        .value_kind:     by_value
      - .offset:         100
        .size:           1
        .value_kind:     by_value
    .group_segment_fixed_size: 2048
    .kernarg_segment_align: 8
    .kernarg_segment_size: 104
    .language:       OpenCL C
    .language_version:
      - 2
      - 0
    .max_flat_workgroup_size: 512
    .name:           _ZN9rocsparseL16sddmm_ell_kernelILi512ELi1EfiiDF16_DF16_fEEv20rocsparse_operation_S1_16rocsparse_order_S2_T3_S3_S3_T2_NS_24const_host_device_scalarIT1_EEPKT4_lPKT5_lS7_PT6_PKS3_21rocsparse_index_base_b
    .private_segment_fixed_size: 0
    .sgpr_count:     22
    .sgpr_spill_count: 0
    .symbol:         _ZN9rocsparseL16sddmm_ell_kernelILi512ELi1EfiiDF16_DF16_fEEv20rocsparse_operation_S1_16rocsparse_order_S2_T3_S3_S3_T2_NS_24const_host_device_scalarIT1_EEPKT4_lPKT5_lS7_PT6_PKS3_21rocsparse_index_base_b.kd
    .uniform_work_group_size: 1
    .uses_dynamic_stack: false
    .vgpr_count:     10
    .vgpr_spill_count: 0
    .wavefront_size: 32
  - .args:
      - .offset:         0
        .size:           4
        .value_kind:     by_value
      - .offset:         4
        .size:           4
        .value_kind:     by_value
      - .offset:         8
        .size:           4
        .value_kind:     by_value
      - .offset:         12
        .size:           4
        .value_kind:     by_value
      - .offset:         16
        .size:           8
        .value_kind:     by_value
      - .offset:         24
        .size:           8
        .value_kind:     by_value
      - .offset:         32
        .size:           8
        .value_kind:     by_value
      - .offset:         40
        .size:           8
        .value_kind:     by_value
      - .offset:         48
        .size:           8
        .value_kind:     by_value
      - .actual_access:  read_only
        .address_space:  global
        .offset:         56
        .size:           8
        .value_kind:     global_buffer
      - .offset:         64
        .size:           8
        .value_kind:     by_value
      - .actual_access:  read_only
        .address_space:  global
        .offset:         72
        .size:           8
        .value_kind:     global_buffer
      - .offset:         80
        .size:           8
        .value_kind:     by_value
      - .offset:         88
        .size:           8
        .value_kind:     by_value
      - .address_space:  global
        .offset:         96
        .size:           8
        .value_kind:     global_buffer
      - .actual_access:  read_only
        .address_space:  global
        .offset:         104
        .size:           8
        .value_kind:     global_buffer
      - .offset:         112
        .size:           4
        .value_kind:     by_value
      - .offset:         116
        .size:           1
        .value_kind:     by_value
    .group_segment_fixed_size: 2048
    .kernarg_segment_align: 8
    .kernarg_segment_size: 120
    .language:       OpenCL C
    .language_version:
      - 2
      - 0
    .max_flat_workgroup_size: 512
    .name:           _ZN9rocsparseL16sddmm_ell_kernelILi512ELi8EfllDF16_DF16_fEEv20rocsparse_operation_S1_16rocsparse_order_S2_T3_S3_S3_T2_NS_24const_host_device_scalarIT1_EEPKT4_lPKT5_lS7_PT6_PKS3_21rocsparse_index_base_b
    .private_segment_fixed_size: 0
    .sgpr_count:     30
    .sgpr_spill_count: 0
    .symbol:         _ZN9rocsparseL16sddmm_ell_kernelILi512ELi8EfllDF16_DF16_fEEv20rocsparse_operation_S1_16rocsparse_order_S2_T3_S3_S3_T2_NS_24const_host_device_scalarIT1_EEPKT4_lPKT5_lS7_PT6_PKS3_21rocsparse_index_base_b.kd
    .uniform_work_group_size: 1
    .uses_dynamic_stack: false
    .vgpr_count:     16
    .vgpr_spill_count: 0
    .wavefront_size: 32
  - .args:
      - .offset:         0
        .size:           4
        .value_kind:     by_value
      - .offset:         4
        .size:           4
        .value_kind:     by_value
      - .offset:         8
        .size:           4
        .value_kind:     by_value
      - .offset:         12
        .size:           4
        .value_kind:     by_value
      - .offset:         16
        .size:           8
        .value_kind:     by_value
      - .offset:         24
        .size:           8
        .value_kind:     by_value
      - .offset:         32
        .size:           8
        .value_kind:     by_value
      - .offset:         40
        .size:           8
        .value_kind:     by_value
      - .offset:         48
        .size:           8
        .value_kind:     by_value
      - .actual_access:  read_only
        .address_space:  global
        .offset:         56
        .size:           8
        .value_kind:     global_buffer
      - .offset:         64
        .size:           8
        .value_kind:     by_value
      - .actual_access:  read_only
        .address_space:  global
        .offset:         72
        .size:           8
        .value_kind:     global_buffer
      - .offset:         80
        .size:           8
        .value_kind:     by_value
      - .offset:         88
        .size:           8
        .value_kind:     by_value
      - .address_space:  global
        .offset:         96
        .size:           8
        .value_kind:     global_buffer
      - .actual_access:  read_only
        .address_space:  global
        .offset:         104
        .size:           8
        .value_kind:     global_buffer
      - .offset:         112
        .size:           4
        .value_kind:     by_value
      - .offset:         116
        .size:           1
        .value_kind:     by_value
    .group_segment_fixed_size: 2048
    .kernarg_segment_align: 8
    .kernarg_segment_size: 120
    .language:       OpenCL C
    .language_version:
      - 2
      - 0
    .max_flat_workgroup_size: 512
    .name:           _ZN9rocsparseL16sddmm_ell_kernelILi512ELi4EfllDF16_DF16_fEEv20rocsparse_operation_S1_16rocsparse_order_S2_T3_S3_S3_T2_NS_24const_host_device_scalarIT1_EEPKT4_lPKT5_lS7_PT6_PKS3_21rocsparse_index_base_b
    .private_segment_fixed_size: 0
    .sgpr_count:     30
    .sgpr_spill_count: 0
    .symbol:         _ZN9rocsparseL16sddmm_ell_kernelILi512ELi4EfllDF16_DF16_fEEv20rocsparse_operation_S1_16rocsparse_order_S2_T3_S3_S3_T2_NS_24const_host_device_scalarIT1_EEPKT4_lPKT5_lS7_PT6_PKS3_21rocsparse_index_base_b.kd
    .uniform_work_group_size: 1
    .uses_dynamic_stack: false
    .vgpr_count:     16
    .vgpr_spill_count: 0
    .wavefront_size: 32
  - .args:
      - .offset:         0
        .size:           4
        .value_kind:     by_value
      - .offset:         4
        .size:           4
        .value_kind:     by_value
      - .offset:         8
        .size:           4
        .value_kind:     by_value
      - .offset:         12
        .size:           4
        .value_kind:     by_value
      - .offset:         16
        .size:           8
        .value_kind:     by_value
      - .offset:         24
        .size:           8
        .value_kind:     by_value
      - .offset:         32
        .size:           8
        .value_kind:     by_value
      - .offset:         40
        .size:           8
        .value_kind:     by_value
      - .offset:         48
        .size:           8
        .value_kind:     by_value
      - .actual_access:  read_only
        .address_space:  global
        .offset:         56
        .size:           8
        .value_kind:     global_buffer
      - .offset:         64
        .size:           8
        .value_kind:     by_value
      - .actual_access:  read_only
        .address_space:  global
        .offset:         72
        .size:           8
        .value_kind:     global_buffer
      - .offset:         80
        .size:           8
        .value_kind:     by_value
      - .offset:         88
        .size:           8
        .value_kind:     by_value
      - .address_space:  global
        .offset:         96
        .size:           8
        .value_kind:     global_buffer
      - .actual_access:  read_only
        .address_space:  global
        .offset:         104
        .size:           8
        .value_kind:     global_buffer
      - .offset:         112
        .size:           4
        .value_kind:     by_value
      - .offset:         116
        .size:           1
        .value_kind:     by_value
    .group_segment_fixed_size: 2048
    .kernarg_segment_align: 8
    .kernarg_segment_size: 120
    .language:       OpenCL C
    .language_version:
      - 2
      - 0
    .max_flat_workgroup_size: 512
    .name:           _ZN9rocsparseL16sddmm_ell_kernelILi512ELi2EfllDF16_DF16_fEEv20rocsparse_operation_S1_16rocsparse_order_S2_T3_S3_S3_T2_NS_24const_host_device_scalarIT1_EEPKT4_lPKT5_lS7_PT6_PKS3_21rocsparse_index_base_b
    .private_segment_fixed_size: 0
    .sgpr_count:     30
    .sgpr_spill_count: 0
    .symbol:         _ZN9rocsparseL16sddmm_ell_kernelILi512ELi2EfllDF16_DF16_fEEv20rocsparse_operation_S1_16rocsparse_order_S2_T3_S3_S3_T2_NS_24const_host_device_scalarIT1_EEPKT4_lPKT5_lS7_PT6_PKS3_21rocsparse_index_base_b.kd
    .uniform_work_group_size: 1
    .uses_dynamic_stack: false
    .vgpr_count:     16
    .vgpr_spill_count: 0
    .wavefront_size: 32
  - .args:
      - .offset:         0
        .size:           4
        .value_kind:     by_value
      - .offset:         4
        .size:           4
        .value_kind:     by_value
      - .offset:         8
        .size:           4
        .value_kind:     by_value
      - .offset:         12
        .size:           4
        .value_kind:     by_value
      - .offset:         16
        .size:           8
        .value_kind:     by_value
      - .offset:         24
        .size:           8
        .value_kind:     by_value
      - .offset:         32
        .size:           8
        .value_kind:     by_value
      - .offset:         40
        .size:           8
        .value_kind:     by_value
      - .offset:         48
        .size:           8
        .value_kind:     by_value
      - .actual_access:  read_only
        .address_space:  global
        .offset:         56
        .size:           8
        .value_kind:     global_buffer
      - .offset:         64
        .size:           8
        .value_kind:     by_value
      - .actual_access:  read_only
        .address_space:  global
        .offset:         72
        .size:           8
        .value_kind:     global_buffer
      - .offset:         80
        .size:           8
        .value_kind:     by_value
      - .offset:         88
        .size:           8
        .value_kind:     by_value
      - .address_space:  global
        .offset:         96
        .size:           8
        .value_kind:     global_buffer
      - .actual_access:  read_only
        .address_space:  global
        .offset:         104
        .size:           8
        .value_kind:     global_buffer
      - .offset:         112
        .size:           4
        .value_kind:     by_value
      - .offset:         116
        .size:           1
        .value_kind:     by_value
    .group_segment_fixed_size: 2048
    .kernarg_segment_align: 8
    .kernarg_segment_size: 120
    .language:       OpenCL C
    .language_version:
      - 2
      - 0
    .max_flat_workgroup_size: 512
    .name:           _ZN9rocsparseL16sddmm_ell_kernelILi512ELi1EfllDF16_DF16_fEEv20rocsparse_operation_S1_16rocsparse_order_S2_T3_S3_S3_T2_NS_24const_host_device_scalarIT1_EEPKT4_lPKT5_lS7_PT6_PKS3_21rocsparse_index_base_b
    .private_segment_fixed_size: 0
    .sgpr_count:     30
    .sgpr_spill_count: 0
    .symbol:         _ZN9rocsparseL16sddmm_ell_kernelILi512ELi1EfllDF16_DF16_fEEv20rocsparse_operation_S1_16rocsparse_order_S2_T3_S3_S3_T2_NS_24const_host_device_scalarIT1_EEPKT4_lPKT5_lS7_PT6_PKS3_21rocsparse_index_base_b.kd
    .uniform_work_group_size: 1
    .uses_dynamic_stack: false
    .vgpr_count:     14
    .vgpr_spill_count: 0
    .wavefront_size: 32
amdhsa.target:   amdgcn-amd-amdhsa--gfx1250
amdhsa.version:
  - 1
  - 2
...

	.end_amdgpu_metadata
